;; amdgpu-corpus repo=ROCm/rocFFT kind=compiled arch=gfx950 opt=O3
	.text
	.amdgcn_target "amdgcn-amd-amdhsa--gfx950"
	.amdhsa_code_object_version 6
	.protected	bluestein_single_back_len1782_dim1_sp_op_CI_CI ; -- Begin function bluestein_single_back_len1782_dim1_sp_op_CI_CI
	.globl	bluestein_single_back_len1782_dim1_sp_op_CI_CI
	.p2align	8
	.type	bluestein_single_back_len1782_dim1_sp_op_CI_CI,@function
bluestein_single_back_len1782_dim1_sp_op_CI_CI: ; @bluestein_single_back_len1782_dim1_sp_op_CI_CI
; %bb.0:
	s_load_dwordx4 s[8:11], s[0:1], 0x28
	v_mul_u32_u24_e32 v1, 0x296, v0
	v_mov_b32_e32 v173, 0
	v_add_u32_sdwa v6, s2, v1 dst_sel:DWORD dst_unused:UNUSED_PAD src0_sel:DWORD src1_sel:WORD_1
	v_mov_b32_e32 v7, v173
	s_waitcnt lgkmcnt(0)
	v_cmp_gt_u64_e32 vcc, s[8:9], v[6:7]
	s_and_saveexec_b64 s[2:3], vcc
	s_cbranch_execz .LBB0_15
; %bb.1:
	s_load_dwordx4 s[4:7], s[0:1], 0x18
	s_load_dwordx2 s[12:13], s[0:1], 0x0
	v_mov_b32_e32 v2, s10
	v_mov_b32_e32 v3, s11
	s_movk_i32 s2, 0x63
	s_waitcnt lgkmcnt(0)
	s_load_dwordx4 s[8:11], s[4:5], 0x0
	v_mul_lo_u16_sdwa v1, v1, s2 dst_sel:DWORD dst_unused:UNUSED_PAD src0_sel:WORD_1 src1_sel:DWORD
	v_sub_u16_e32 v172, v0, v1
	v_accvgpr_write_b32 a14, v6
	v_lshlrev_b32_e32 v120, 3, v172
	s_waitcnt lgkmcnt(0)
	v_mad_u64_u32 v[0:1], s[2:3], s10, v6, 0
	v_mov_b32_e32 v4, v1
	v_mad_u64_u32 v[4:5], s[2:3], s11, v6, v[4:5]
	v_mov_b32_e32 v1, v4
	v_mad_u64_u32 v[4:5], s[2:3], s8, v172, 0
	v_mov_b32_e32 v6, v5
	v_mad_u64_u32 v[6:7], s[2:3], s9, v172, v[6:7]
	s_mul_i32 s2, s9, 0xa2
	s_mul_hi_u32 s3, s8, 0xa2
	v_mov_b32_e32 v5, v6
	v_lshl_add_u64 v[0:1], v[0:1], 3, v[2:3]
	s_add_i32 s3, s3, s2
	s_mul_i32 s2, s8, 0xa2
	v_lshl_add_u64 v[0:1], v[4:5], 3, v[0:1]
	s_lshl_b64 s[10:11], s[2:3], 3
	v_mov_b32_e32 v121, v173
	global_load_dwordx2 v[52:53], v120, s[12:13]
	global_load_dwordx2 v[10:11], v[0:1], off
	v_lshl_add_u64 v[0:1], v[0:1], 0, s[10:11]
	v_lshl_add_u64 v[8:9], s[12:13], 0, v[120:121]
	global_load_dwordx2 v[12:13], v[0:1], off
	v_lshl_add_u64 v[0:1], v[0:1], 0, s[10:11]
	s_movk_i32 s2, 0x1000
	global_load_dwordx2 v[54:55], v120, s[12:13] offset:1296
	global_load_dwordx2 v[50:51], v120, s[12:13] offset:2592
	v_lshl_add_u64 v[2:3], v[0:1], 0, s[10:11]
	global_load_dwordx2 v[14:15], v[0:1], off
	global_load_dwordx2 v[16:17], v[2:3], off
	global_load_dwordx2 v[46:47], v120, s[12:13] offset:3888
	v_add_co_u32_e32 v0, vcc, s2, v8
	v_lshl_add_u64 v[2:3], v[2:3], 0, s[10:11]
	s_nop 0
	v_addc_co_u32_e32 v1, vcc, 0, v9, vcc
	global_load_dwordx2 v[18:19], v[2:3], off
	global_load_dwordx2 v[44:45], v[0:1], off offset:1088
	v_lshl_add_u64 v[2:3], v[2:3], 0, s[10:11]
	global_load_dwordx2 v[20:21], v[2:3], off
	v_lshl_add_u64 v[2:3], v[2:3], 0, s[10:11]
	s_movk_i32 s2, 0x2000
	global_load_dwordx2 v[48:49], v[0:1], off offset:2384
	global_load_dwordx2 v[22:23], v[2:3], off
	global_load_dwordx2 v[38:39], v[0:1], off offset:3680
	v_lshl_add_u64 v[4:5], v[2:3], 0, s[10:11]
	v_add_co_u32_e32 v2, vcc, s2, v8
	global_load_dwordx2 v[24:25], v[4:5], off
	s_nop 0
	v_addc_co_u32_e32 v3, vcc, 0, v9, vcc
	global_load_dwordx2 v[40:41], v[2:3], off offset:880
	v_lshl_add_u64 v[4:5], v[4:5], 0, s[10:11]
	global_load_dwordx2 v[26:27], v[4:5], off
	v_lshl_add_u64 v[4:5], v[4:5], 0, s[10:11]
	s_movk_i32 s2, 0x3000
	global_load_dwordx2 v[28:29], v[4:5], off
	global_load_dwordx2 v[42:43], v[2:3], off offset:2176
	global_load_dwordx2 v[36:37], v[2:3], off offset:3472
	v_lshl_add_u64 v[6:7], v[4:5], 0, s[10:11]
	v_add_co_u32_e32 v4, vcc, s2, v8
	v_accvgpr_write_b32 a0, v8
	s_nop 0
	v_addc_co_u32_e32 v5, vcc, 0, v9, vcc
	global_load_dwordx2 v[34:35], v[4:5], off offset:672
	global_load_dwordx2 v[30:31], v[6:7], off
	v_accvgpr_write_b32 a1, v9
	v_add_u32_e32 v8, 0x800, v120
	s_load_dwordx2 s[2:3], s[0:1], 0x38
	v_cmp_gt_u16_e32 vcc, 63, v172
	s_load_dwordx4 s[4:7], s[6:7], 0x0
	s_waitcnt vmcnt(21)
	v_accvgpr_write_b32 a24, v52
	s_waitcnt vmcnt(20)
	v_mul_f32_e32 v32, v11, v53
	v_mul_f32_e32 v9, v10, v53
	v_fmac_f32_e32 v32, v10, v52
	v_fma_f32 v33, v11, v52, -v9
	v_accvgpr_write_b32 a25, v53
	s_waitcnt vmcnt(18)
	v_mul_f32_e32 v10, v13, v55
	v_mul_f32_e32 v9, v12, v55
	v_fmac_f32_e32 v10, v12, v54
	v_fma_f32 v11, v13, v54, -v9
	s_waitcnt vmcnt(16)
	v_mul_f32_e32 v9, v14, v51
	v_mul_f32_e32 v12, v15, v51
	ds_write2_b64 v120, v[32:33], v[10:11] offset1:162
	v_fma_f32 v13, v15, v50, -v9
	s_waitcnt vmcnt(14)
	v_mul_f32_e32 v10, v17, v47
	v_mul_f32_e32 v9, v16, v47
	v_fmac_f32_e32 v12, v14, v50
	v_fmac_f32_e32 v10, v16, v46
	v_fma_f32 v11, v17, v46, -v9
	s_waitcnt vmcnt(12)
	v_mul_f32_e32 v9, v18, v45
	v_mul_f32_e32 v14, v19, v45
	ds_write2_b64 v8, v[12:13], v[10:11] offset0:68 offset1:230
	v_fma_f32 v15, v19, v44, -v9
	s_waitcnt vmcnt(10)
	v_mul_f32_e32 v10, v21, v49
	v_mul_f32_e32 v9, v20, v49
	v_fmac_f32_e32 v14, v18, v44
	v_fmac_f32_e32 v10, v20, v48
	v_fma_f32 v11, v21, v48, -v9
	v_add_u32_e32 v9, 0x1400, v120
	ds_write2_b64 v9, v[14:15], v[10:11] offset0:8 offset1:170
	s_waitcnt vmcnt(8)
	v_mul_f32_e32 v10, v22, v39
	v_mul_f32_e32 v12, v23, v39
	v_fma_f32 v13, v23, v38, -v10
	s_waitcnt vmcnt(6)
	v_mul_f32_e32 v14, v25, v41
	v_mul_f32_e32 v10, v24, v41
	v_fmac_f32_e32 v12, v22, v38
	v_fmac_f32_e32 v14, v24, v40
	v_fma_f32 v15, v25, v40, -v10
	v_add_u32_e32 v10, 0x1c00, v120
	s_waitcnt vmcnt(3)
	v_mul_f32_e32 v11, v26, v43
	ds_write2_b64 v10, v[12:13], v[14:15] offset0:76 offset1:238
	v_mul_f32_e32 v12, v27, v43
	v_fma_f32 v13, v27, v42, -v11
	s_waitcnt vmcnt(2)
	v_mul_f32_e32 v14, v29, v37
	v_mul_f32_e32 v11, v28, v37
	v_fmac_f32_e32 v12, v26, v42
	v_fmac_f32_e32 v14, v28, v36
	v_fma_f32 v15, v29, v36, -v11
	v_add_u32_e32 v11, 0x2800, v120
	v_accvgpr_write_b32 a26, v54
	v_accvgpr_write_b32 a22, v50
	;; [unrolled: 1-line block ×9, first 2 shown]
	ds_write2_b64 v11, v[12:13], v[14:15] offset0:16 offset1:178
	s_waitcnt vmcnt(0)
	v_mul_f32_e32 v12, v31, v35
	v_mul_f32_e32 v13, v30, v35
	v_accvgpr_write_b32 a2, v34
	v_accvgpr_write_b32 a27, v55
	;; [unrolled: 1-line block ×10, first 2 shown]
	v_fmac_f32_e32 v12, v30, v34
	v_accvgpr_write_b32 a3, v35
	v_fma_f32 v13, v31, v34, -v13
	ds_write_b64 v120, v[12:13] offset:12960
	s_and_saveexec_b64 s[14:15], vcc
	s_cbranch_execz .LBB0_3
; %bb.2:
	v_mov_b32_e32 v12, 0xffffd078
	s_mulk_i32 s9, 0xd078
	v_mad_u64_u32 v[6:7], s[16:17], s8, v12, v[6:7]
	s_sub_i32 s8, s9, s8
	v_accvgpr_read_b32 v23, a1
	v_add_u32_e32 v7, s8, v7
	v_accvgpr_read_b32 v22, a0
	global_load_dwordx2 v[12:13], v[6:7], off
	global_load_dwordx2 v[14:15], v[22:23], off offset:792
	v_lshl_add_u64 v[6:7], v[6:7], 0, s[10:11]
	global_load_dwordx2 v[16:17], v[6:7], off
	global_load_dwordx2 v[18:19], v[22:23], off offset:2088
	v_lshl_add_u64 v[6:7], v[6:7], 0, s[10:11]
	global_load_dwordx2 v[20:21], v[6:7], off
	s_nop 0
	global_load_dwordx2 v[22:23], v[22:23], off offset:3384
	s_nop 0
	global_load_dwordx2 v[24:25], v[0:1], off offset:584
	v_lshl_add_u64 v[6:7], v[6:7], 0, s[10:11]
	global_load_dwordx2 v[26:27], v[6:7], off
	v_lshl_add_u64 v[6:7], v[6:7], 0, s[10:11]
	global_load_dwordx2 v[28:29], v[6:7], off
	global_load_dwordx2 v[30:31], v[0:1], off offset:1880
	v_lshl_add_u64 v[6:7], v[6:7], 0, s[10:11]
	global_load_dwordx2 v[32:33], v[6:7], off
	global_load_dwordx2 v[34:35], v[0:1], off offset:3176
	;; [unrolled: 3-line block ×3, first 2 shown]
	global_load_dwordx2 v[38:39], v[2:3], off offset:1672
	v_lshl_add_u64 v[0:1], v[0:1], 0, s[10:11]
	global_load_dwordx2 v[40:41], v[0:1], off
	v_lshl_add_u64 v[0:1], v[0:1], 0, s[10:11]
	global_load_dwordx2 v[42:43], v[0:1], off
	global_load_dwordx2 v[44:45], v[2:3], off offset:2968
	v_lshl_add_u64 v[0:1], v[0:1], 0, s[10:11]
	global_load_dwordx2 v[2:3], v[0:1], off
	global_load_dwordx2 v[46:47], v[4:5], off offset:168
	global_load_dwordx2 v[48:49], v[4:5], off offset:1464
	v_lshl_add_u64 v[0:1], v[0:1], 0, s[10:11]
	global_load_dwordx2 v[0:1], v[0:1], off
	v_add_u32_e32 v50, 0x200, v120
	v_add_u32_e32 v51, 0xc00, v120
	;; [unrolled: 1-line block ×5, first 2 shown]
	s_waitcnt vmcnt(20)
	v_mul_f32_e32 v4, v13, v15
	v_mul_f32_e32 v5, v12, v15
	v_fmac_f32_e32 v4, v12, v14
	v_fma_f32 v5, v13, v14, -v5
	s_waitcnt vmcnt(18)
	v_mul_f32_e32 v12, v17, v19
	v_mul_f32_e32 v13, v16, v19
	v_fmac_f32_e32 v12, v16, v18
	v_fma_f32 v13, v17, v18, -v13
	s_waitcnt vmcnt(16)
	v_mul_f32_e32 v14, v21, v23
	v_mul_f32_e32 v15, v20, v23
	ds_write2_b64 v50, v[4:5], v[12:13] offset0:35 offset1:197
	s_waitcnt vmcnt(14)
	v_mul_f32_e32 v4, v27, v25
	v_mul_f32_e32 v5, v26, v25
	v_fmac_f32_e32 v14, v20, v22
	v_fma_f32 v15, v21, v22, -v15
	v_fmac_f32_e32 v4, v26, v24
	v_fma_f32 v5, v27, v24, -v5
	s_waitcnt vmcnt(12)
	v_mul_f32_e32 v12, v29, v31
	v_mul_f32_e32 v13, v28, v31
	ds_write2_b64 v51, v[14:15], v[4:5] offset0:39 offset1:201
	s_waitcnt vmcnt(10)
	v_mul_f32_e32 v4, v33, v35
	v_mul_f32_e32 v5, v32, v35
	v_fmac_f32_e32 v12, v28, v30
	v_fma_f32 v13, v29, v30, -v13
	;; [unrolled: 11-line block ×3, first 2 shown]
	v_fmac_f32_e32 v4, v40, v38
	v_fma_f32 v5, v41, v38, -v5
	ds_write2_b64 v53, v[14:15], v[4:5] offset0:47 offset1:209
	s_waitcnt vmcnt(2)
	v_mul_f32_e32 v4, v3, v47
	v_mul_f32_e32 v5, v2, v47
	;; [unrolled: 1-line block ×4, first 2 shown]
	v_fmac_f32_e32 v4, v2, v46
	v_fma_f32 v5, v3, v46, -v5
	s_waitcnt vmcnt(0)
	v_mul_f32_e32 v2, v1, v49
	v_mul_f32_e32 v3, v0, v49
	v_fmac_f32_e32 v6, v42, v44
	v_fma_f32 v7, v43, v44, -v7
	v_fmac_f32_e32 v2, v0, v48
	v_fma_f32 v3, v1, v48, -v3
	ds_write2_b64 v54, v[6:7], v[4:5] offset0:51 offset1:213
	ds_write_b64 v120, v[2:3] offset:13752
.LBB0_3:
	s_or_b64 exec, exec, s[14:15]
	s_waitcnt lgkmcnt(0)
	s_barrier
	ds_read2_b64 v[24:27], v120 offset1:162
	ds_read2_b64 v[28:31], v8 offset0:68 offset1:230
	ds_read2_b64 v[40:43], v9 offset0:8 offset1:170
	;; [unrolled: 1-line block ×4, first 2 shown]
	ds_read_b64 v[0:1], v120 offset:12960
	s_load_dwordx2 s[0:1], s[0:1], 0x8
	v_mov_b64_e32 v[4:5], 0
                                        ; implicit-def: $vgpr12
                                        ; implicit-def: $vgpr10
                                        ; implicit-def: $vgpr20
                                        ; implicit-def: $vgpr18
                                        ; implicit-def: $vgpr44
	s_and_saveexec_b64 s[8:9], vcc
	s_cbranch_execz .LBB0_5
; %bb.4:
	v_add_u32_e32 v2, 0x200, v120
	ds_read2_b64 v[4:7], v2 offset0:35 offset1:197
	v_add_u32_e32 v2, 0xc00, v120
	ds_read2_b64 v[16:19], v2 offset0:39 offset1:201
	;; [unrolled: 2-line block ×5, first 2 shown]
	ds_read_b64 v[44:45], v120 offset:13752
.LBB0_5:
	s_or_b64 exec, exec, s[8:9]
	s_waitcnt lgkmcnt(0)
	v_pk_add_f32 v[66:67], v[6:7], v[44:45] neg_lo:[0,1] neg_hi:[0,1]
	s_mov_b32 s18, 0xbf7d64f0
	v_pk_add_f32 v[50:51], v[44:45], v[6:7]
	s_mov_b32 s16, 0xbe11bafb
	v_pk_mul_f32 v[56:57], v[66:67], s[18:19] op_sel:[1,0] op_sel_hi:[0,0]
	s_mov_b32 s28, 0xbf68dda4
	v_pk_fma_f32 v[54:55], v[50:51], s[16:17], v[56:57] op_sel_hi:[1,0,1]
	v_pk_fma_f32 v[56:57], v[50:51], s[16:17], v[56:57] op_sel_hi:[1,0,1] neg_lo:[0,0,1] neg_hi:[0,0,1]
	s_mov_b32 s10, 0xbf4178ce
	v_pk_add_f32 v[74:75], v[16:17], v[22:23] neg_lo:[0,1] neg_hi:[0,1]
	s_mov_b32 s14, 0x3ed4b147
	v_pk_mul_f32 v[2:3], v[66:67], s[28:29] op_sel:[1,0] op_sel_hi:[0,0]
	v_mov_b32_e32 v62, v54
	v_mov_b32_e32 v63, v57
	s_mov_b32 s8, 0xbf27a4f4
	v_pk_add_f32 v[52:53], v[22:23], v[16:17]
	v_pk_fma_f32 v[58:59], v[50:51], s[14:15], v[2:3] op_sel_hi:[1,0,1]
	v_pk_fma_f32 v[60:61], v[50:51], s[14:15], v[2:3] op_sel_hi:[1,0,1] neg_lo:[0,0,1] neg_hi:[0,0,1]
	v_pk_add_f32 v[68:69], v[62:63], v[4:5]
	v_pk_mul_f32 v[62:63], v[74:75], s[10:11] op_sel:[1,0] op_sel_hi:[0,0]
	v_mov_b32_e32 v2, v58
	v_mov_b32_e32 v3, v61
	v_pk_fma_f32 v[70:71], v[52:53], s[8:9], v[62:63] op_sel_hi:[1,0,1]
	v_pk_fma_f32 v[72:73], v[52:53], s[8:9], v[62:63] op_sel_hi:[1,0,1] neg_lo:[0,0,1] neg_hi:[0,0,1]
	s_mov_b32 s30, 0x3e903f40
	v_pk_add_f32 v[2:3], v[2:3], v[4:5]
	v_mov_b32_e32 v62, v70
	v_mov_b32_e32 v63, v73
	s_mov_b32 s20, 0xbf75a155
	v_pk_mul_f32 v[64:65], v[74:75], s[30:31] op_sel:[1,0] op_sel_hi:[0,0]
	v_pk_add_f32 v[2:3], v[62:63], v[2:3]
	v_pk_fma_f32 v[62:63], v[52:53], s[20:21], v[64:65] op_sel_hi:[1,0,1]
	v_pk_fma_f32 v[64:65], v[52:53], s[20:21], v[64:65] op_sel_hi:[1,0,1] neg_lo:[0,0,1] neg_hi:[0,0,1]
	v_pk_add_f32 v[76:77], v[18:19], v[20:21] neg_lo:[0,1] neg_hi:[0,1]
	v_mov_b32_e32 v80, v62
	v_mov_b32_e32 v81, v65
	v_pk_add_f32 v[48:49], v[20:21], v[18:19]
	v_pk_add_f32 v[68:69], v[80:81], v[68:69]
	v_pk_mul_f32 v[80:81], v[76:77], s[30:31] op_sel:[1,0] op_sel_hi:[0,0]
	v_pk_fma_f32 v[84:85], v[48:49], s[20:21], v[80:81] op_sel_hi:[1,0,1]
	v_pk_fma_f32 v[86:87], v[48:49], s[20:21], v[80:81] op_sel_hi:[1,0,1] neg_lo:[0,0,1] neg_hi:[0,0,1]
	s_mov_b32 s22, 0x3f68dda4
	v_mov_b32_e32 v80, v84
	v_mov_b32_e32 v81, v87
	v_pk_mul_f32 v[82:83], v[76:77], s[22:23] op_sel:[1,0] op_sel_hi:[0,0]
	v_pk_add_f32 v[2:3], v[80:81], v[2:3]
	v_pk_fma_f32 v[80:81], v[48:49], s[14:15], v[82:83] op_sel_hi:[1,0,1]
	v_pk_fma_f32 v[82:83], v[48:49], s[14:15], v[82:83] op_sel_hi:[1,0,1] neg_lo:[0,0,1] neg_hi:[0,0,1]
	v_pk_add_f32 v[78:79], v[8:9], v[14:15] neg_lo:[0,1] neg_hi:[0,1]
	s_mov_b32 s34, 0x3f7d64f0
	v_mov_b32_e32 v88, v80
	v_mov_b32_e32 v89, v83
	v_pk_add_f32 v[46:47], v[14:15], v[8:9]
	v_pk_add_f32 v[68:69], v[88:89], v[68:69]
	v_pk_mul_f32 v[88:89], v[78:79], s[34:35] op_sel:[1,0] op_sel_hi:[0,0]
	v_pk_fma_f32 v[92:93], v[46:47], s[16:17], v[88:89] op_sel_hi:[1,0,1]
	v_pk_fma_f32 v[94:95], v[46:47], s[16:17], v[88:89] op_sel_hi:[1,0,1] neg_lo:[0,0,1] neg_hi:[0,0,1]
	s_mov_b32 s36, 0xbf0a6770
	v_mov_b32_e32 v88, v92
	v_mov_b32_e32 v89, v95
	s_mov_b32 s24, 0x3f575c64
	v_pk_mul_f32 v[90:91], v[78:79], s[36:37] op_sel:[1,0] op_sel_hi:[0,0]
	v_pk_add_f32 v[2:3], v[88:89], v[2:3]
	v_pk_fma_f32 v[88:89], v[46:47], s[24:25], v[90:91] op_sel_hi:[1,0,1]
	v_pk_fma_f32 v[90:91], v[46:47], s[24:25], v[90:91] op_sel_hi:[1,0,1] neg_lo:[0,0,1] neg_hi:[0,0,1]
	v_mov_b32_e32 v96, v88
	v_mov_b32_e32 v97, v91
	s_mov_b32 s26, 0x3f0a6770
	v_pk_add_f32 v[104:105], v[10:11], v[12:13] neg_lo:[0,1] neg_hi:[0,1]
	v_pk_add_f32 v[106:107], v[96:97], v[68:69]
	v_pk_add_f32 v[68:69], v[12:13], v[10:11]
	v_pk_mul_f32 v[96:97], v[104:105], s[26:27] op_sel:[1,0] op_sel_hi:[0,0]
	v_pk_fma_f32 v[100:101], v[68:69], s[24:25], v[96:97] op_sel_hi:[1,0,1]
	v_pk_fma_f32 v[102:103], v[68:69], s[24:25], v[96:97] op_sel_hi:[1,0,1] neg_lo:[0,0,1] neg_hi:[0,0,1]
	v_mov_b32_e32 v96, v100
	v_mov_b32_e32 v97, v103
	v_pk_add_f32 v[244:245], v[96:97], v[2:3]
	v_pk_mul_f32 v[2:3], v[104:105], s[10:11] op_sel:[1,0] op_sel_hi:[0,0]
	v_pk_fma_f32 v[96:97], v[68:69], s[8:9], v[2:3] op_sel_hi:[1,0,1]
	v_pk_fma_f32 v[98:99], v[68:69], s[8:9], v[2:3] op_sel_hi:[1,0,1] neg_lo:[0,0,1] neg_hi:[0,0,1]
	v_mov_b32_e32 v2, v96
	v_mov_b32_e32 v3, v99
	v_pk_add_f32 v[242:243], v[2:3], v[106:107]
	v_pk_add_f32 v[2:3], v[24:25], v[26:27]
	;; [unrolled: 1-line block ×6, first 2 shown]
	v_pk_add_f32 v[114:115], v[40:41], v[38:39] neg_lo:[0,1] neg_hi:[0,1]
	v_pk_add_f32 v[2:3], v[2:3], v[40:41]
	v_pk_add_f32 v[160:161], v[32:33], v[30:31]
	;; [unrolled: 1-line block ×5, first 2 shown]
	v_pk_add_f32 v[116:117], v[42:43], v[36:37] neg_lo:[0,1] neg_hi:[0,1]
	v_pk_add_f32 v[2:3], v[2:3], v[38:39]
	v_pk_add_f32 v[38:39], v[30:31], v[32:33] neg_lo:[0,1] neg_hi:[0,1]
	v_pk_add_f32 v[2:3], v[2:3], v[32:33]
	v_mov_b32_e32 v31, v167
	v_pk_add_f32 v[2:3], v[2:3], v[34:35]
	v_pk_add_f32 v[162:163], v[34:35], v[28:29]
	v_pk_add_f32 v[164:165], v[2:3], v[0:1]
	v_pk_add_f32 v[0:1], v[26:27], v[0:1] neg_lo:[0,1] neg_hi:[0,1]
	v_pk_add_f32 v[36:37], v[28:29], v[34:35] neg_lo:[0,1] neg_hi:[0,1]
	v_mov_b32_e32 v30, v1
	v_mov_b32_e32 v167, v0
	v_pk_mul_f32 v[0:1], v[66:67], s[36:37] op_sel:[1,0] op_sel_hi:[0,0]
	v_pk_fma_f32 v[106:107], v[50:51], s[24:25], v[0:1] op_sel_hi:[1,0,1]
	v_pk_fma_f32 v[112:113], v[50:51], s[24:25], v[0:1] op_sel_hi:[1,0,1] neg_lo:[0,0,1] neg_hi:[0,0,1]
	v_pk_mul_f32 v[0:1], v[74:75], s[28:29] op_sel:[1,0] op_sel_hi:[0,0]
	v_pk_fma_f32 v[108:109], v[52:53], s[14:15], v[0:1] op_sel_hi:[1,0,1]
	v_pk_fma_f32 v[110:111], v[52:53], s[14:15], v[0:1] op_sel_hi:[1,0,1] neg_lo:[0,0,1] neg_hi:[0,0,1]
	v_pk_mul_f32 v[0:1], v[76:77], s[36:37] op_sel:[1,0] op_sel_hi:[0,0]
	v_mov_b32_e32 v28, v37
	v_mov_b32_e32 v29, v163
	;; [unrolled: 1-line block ×3, first 2 shown]
	v_pk_fma_f32 v[34:35], v[48:49], s[24:25], v[0:1] op_sel_hi:[1,0,1]
	v_pk_fma_f32 v[36:37], v[48:49], s[24:25], v[0:1] op_sel_hi:[1,0,1] neg_lo:[0,0,1] neg_hi:[0,0,1]
	v_pk_mul_f32 v[0:1], v[104:105], s[22:23] op_sel:[1,0] op_sel_hi:[0,0]
	s_mov_b32 s25, s36
	v_pk_fma_f32 v[26:27], v[68:69], s[14:15], v[0:1] op_sel_hi:[1,0,1]
	v_pk_fma_f32 v[32:33], v[68:69], s[14:15], v[0:1] op_sel_hi:[1,0,1] neg_lo:[0,0,1] neg_hi:[0,0,1]
	s_mov_b32 s37, s24
	v_pk_mul_f32 v[144:145], v[166:167], s[24:25]
	s_mov_b32 s15, s28
	v_pk_fma_f32 v[0:1], v[30:31], s[36:37], v[144:145] neg_lo:[1,0,0] neg_hi:[1,0,0]
	v_pk_fma_f32 v[136:137], v[30:31], s[36:37], v[144:145]
	s_mov_b32 s29, s14
	v_pk_mul_f32 v[140:141], v[162:163], s[14:15]
	v_mov_b32_e32 v1, v137
	v_pk_fma_f32 v[2:3], v[28:29], s[28:29], v[140:141] neg_lo:[1,0,0] neg_hi:[1,0,0]
	v_pk_fma_f32 v[138:139], v[28:29], s[28:29], v[140:141]
	v_pk_add_f32 v[0:1], v[24:25], v[0:1]
	v_mov_b32_e32 v3, v139
	v_pk_add_f32 v[42:43], v[2:3], v[0:1]
	v_pk_mul_f32 v[0:1], v[74:75], s[34:35] op_sel:[1,0] op_sel_hi:[0,0]
	v_mov_b32_e32 v142, v39
	v_mov_b32_e32 v143, v161
	;; [unrolled: 1-line block ×3, first 2 shown]
	v_pk_fma_f32 v[38:39], v[52:53], s[16:17], v[0:1] op_sel_hi:[1,0,1]
	v_pk_fma_f32 v[40:41], v[52:53], s[16:17], v[0:1] op_sel_hi:[1,0,1] neg_lo:[0,0,1] neg_hi:[0,0,1]
	v_pk_mul_f32 v[0:1], v[76:77], s[18:19] op_sel:[1,0] op_sel_hi:[0,0]
	v_pk_fma_f32 v[118:119], v[48:49], s[16:17], v[0:1] op_sel_hi:[1,0,1]
	v_pk_fma_f32 v[124:125], v[48:49], s[16:17], v[0:1] op_sel_hi:[1,0,1] neg_lo:[0,0,1] neg_hi:[0,0,1]
	s_mov_b32 s17, s18
	s_mov_b32 s19, s16
	v_pk_mul_f32 v[2:3], v[160:161], s[16:17]
	s_mov_b32 s38, 0xbe903f40
	v_pk_fma_f32 v[122:123], v[142:143], s[18:19], v[2:3] neg_lo:[1,0,0] neg_hi:[1,0,0]
	v_pk_fma_f32 v[0:1], v[142:143], s[18:19], v[2:3]
	v_mov_b32_e32 v152, v117
	v_mov_b32_e32 v123, v1
	v_pk_add_f32 v[132:133], v[122:123], v[42:43]
	v_mov_b32_e32 v122, v115
	v_mov_b32_e32 v123, v159
	;; [unrolled: 1-line block ×3, first 2 shown]
	v_pk_mul_f32 v[42:43], v[66:67], s[10:11] op_sel:[1,0] op_sel_hi:[0,0]
	v_pk_mul_f32 v[114:115], v[78:79], s[10:11] op_sel:[1,0] op_sel_hi:[0,0]
	v_pk_fma_f32 v[150:151], v[50:51], s[8:9], v[42:43] op_sel_hi:[1,0,1]
	v_pk_fma_f32 v[42:43], v[50:51], s[8:9], v[42:43] op_sel_hi:[1,0,1] neg_lo:[0,0,1] neg_hi:[0,0,1]
	v_pk_fma_f32 v[126:127], v[46:47], s[8:9], v[114:115] op_sel_hi:[1,0,1]
	v_pk_fma_f32 v[130:131], v[46:47], s[8:9], v[114:115] op_sel_hi:[1,0,1] neg_lo:[0,0,1] neg_hi:[0,0,1]
	s_mov_b32 s9, s10
	s_mov_b32 s11, s8
	v_pk_mul_f32 v[148:149], v[158:159], s[8:9]
	v_mov_b32_e32 v153, v129
	v_pk_fma_f32 v[114:115], v[122:123], s[10:11], v[148:149] neg_lo:[1,0,0] neg_hi:[1,0,0]
	v_pk_fma_f32 v[146:147], v[122:123], s[10:11], v[148:149]
	v_mov_b32_e32 v129, v116
	v_mov_b32_e32 v115, v147
	v_pk_mul_f32 v[116:117], v[78:79], s[38:39] op_sel:[1,0] op_sel_hi:[0,0]
	v_pk_mul_f32 v[134:135], v[104:105], s[38:39] op_sel:[1,0] op_sel_hi:[0,0]
	v_pk_add_f32 v[168:169], v[114:115], v[132:133]
	v_pk_fma_f32 v[114:115], v[46:47], s[20:21], v[116:117] op_sel_hi:[1,0,1]
	v_pk_fma_f32 v[116:117], v[46:47], s[20:21], v[116:117] op_sel_hi:[1,0,1] neg_lo:[0,0,1] neg_hi:[0,0,1]
	v_pk_fma_f32 v[132:133], v[68:69], s[20:21], v[134:135] op_sel_hi:[1,0,1]
	v_pk_fma_f32 v[134:135], v[68:69], s[20:21], v[134:135] op_sel_hi:[1,0,1] neg_lo:[0,0,1] neg_hi:[0,0,1]
	s_mov_b32 s21, s38
	s_mov_b32 s39, s20
	v_pk_mul_f32 v[156:157], v[128:129], s[20:21]
	v_mul_lo_u16_e32 v1, 11, v172
	v_pk_fma_f32 v[170:171], v[152:153], s[38:39], v[156:157] neg_lo:[1,0,0] neg_hi:[1,0,0]
	v_pk_fma_f32 v[154:155], v[152:153], s[38:39], v[156:157]
	v_lshlrev_b32_e32 v121, 3, v1
	v_mov_b32_e32 v171, v155
	v_pk_add_f32 v[168:169], v[170:171], v[168:169]
	s_barrier
	ds_write2_b64 v121, v[164:165], v[168:169] offset1:1
	v_pk_mul_f32 v[164:165], v[166:167], s[14:15]
	v_accvgpr_write_b32 a6, v172
	v_pk_fma_f32 v[168:169], v[30:31], s[28:29], v[164:165] neg_lo:[1,0,0] neg_hi:[1,0,0]
	v_pk_fma_f32 v[170:171], v[30:31], s[28:29], v[164:165]
	v_accvgpr_write_b32 a7, v173
	v_pk_mul_f32 v[172:173], v[162:163], s[8:9]
	v_mov_b32_e32 v169, v171
	v_pk_fma_f32 v[174:175], v[28:29], s[10:11], v[172:173] neg_lo:[1,0,0] neg_hi:[1,0,0]
	v_pk_fma_f32 v[176:177], v[28:29], s[10:11], v[172:173]
	v_pk_add_f32 v[168:169], v[24:25], v[168:169]
	v_mov_b32_e32 v175, v177
	s_mov_b32 s40, s20
	s_mov_b32 s41, s30
	v_pk_add_f32 v[168:169], v[174:175], v[168:169]
	s_mov_b32 s31, s20
	v_pk_mul_f32 v[174:175], v[160:161], s[40:41]
	s_mov_b32 s42, s16
	v_pk_fma_f32 v[178:179], v[142:143], s[30:31], v[174:175] neg_lo:[1,0,0] neg_hi:[1,0,0]
	v_pk_fma_f32 v[180:181], v[142:143], s[30:31], v[174:175]
	s_mov_b32 s43, s34
	v_mov_b32_e32 v179, v181
	v_pk_add_f32 v[168:169], v[178:179], v[168:169]
	s_mov_b32 s35, s16
	v_pk_mul_f32 v[178:179], v[158:159], s[42:43]
	s_mov_b32 s44, s24
	v_pk_fma_f32 v[182:183], v[122:123], s[34:35], v[178:179] neg_lo:[1,0,0] neg_hi:[1,0,0]
	v_pk_fma_f32 v[184:185], v[122:123], s[34:35], v[178:179]
	s_mov_b32 s45, s26
	v_mov_b32_e32 v183, v185
	v_pk_add_f32 v[168:169], v[182:183], v[168:169]
	s_mov_b32 s27, s24
	v_pk_mul_f32 v[182:183], v[128:129], s[44:45]
	v_pk_mul_f32 v[194:195], v[162:163], s[40:41]
	v_pk_fma_f32 v[186:187], v[152:153], s[26:27], v[182:183] neg_lo:[1,0,0] neg_hi:[1,0,0]
	v_pk_fma_f32 v[188:189], v[152:153], s[26:27], v[182:183]
	v_pk_fma_f32 v[196:197], v[28:29], s[30:31], v[194:195] neg_lo:[1,0,0] neg_hi:[1,0,0]
	v_mov_b32_e32 v187, v189
	v_pk_add_f32 v[168:169], v[186:187], v[168:169]
	v_pk_mul_f32 v[186:187], v[166:167], s[16:17]
	v_pk_fma_f32 v[198:199], v[28:29], s[30:31], v[194:195]
	v_pk_fma_f32 v[190:191], v[30:31], s[18:19], v[186:187] neg_lo:[1,0,0] neg_hi:[1,0,0]
	v_pk_fma_f32 v[192:193], v[30:31], s[18:19], v[186:187]
	v_mov_b32_e32 v197, v199
	v_mov_b32_e32 v191, v193
	v_pk_add_f32 v[190:191], v[24:25], v[190:191]
	s_mov_b32 s15, s22
	v_pk_add_f32 v[190:191], v[196:197], v[190:191]
	s_mov_b32 s23, s14
	v_pk_mul_f32 v[196:197], v[160:161], s[14:15]
	v_pk_mul_f32 v[212:213], v[162:163], s[42:43]
	v_pk_fma_f32 v[200:201], v[142:143], s[22:23], v[196:197] neg_lo:[1,0,0] neg_hi:[1,0,0]
	v_pk_fma_f32 v[202:203], v[142:143], s[22:23], v[196:197]
	v_pk_fma_f32 v[214:215], v[28:29], s[34:35], v[212:213] neg_lo:[1,0,0] neg_hi:[1,0,0]
	v_mov_b32_e32 v201, v203
	v_pk_add_f32 v[190:191], v[200:201], v[190:191]
	v_pk_mul_f32 v[200:201], v[158:159], s[24:25]
	v_pk_fma_f32 v[216:217], v[28:29], s[34:35], v[212:213]
	v_pk_fma_f32 v[204:205], v[122:123], s[36:37], v[200:201] neg_lo:[1,0,0] neg_hi:[1,0,0]
	v_pk_fma_f32 v[206:207], v[122:123], s[36:37], v[200:201]
	v_mov_b32_e32 v215, v217
	v_mov_b32_e32 v205, v207
	v_pk_add_f32 v[190:191], v[204:205], v[190:191]
	v_pk_mul_f32 v[204:205], v[128:129], s[8:9]
	v_pk_mul_f32 v[162:163], v[162:163], s[44:45]
	v_pk_fma_f32 v[208:209], v[152:153], s[10:11], v[204:205] neg_lo:[1,0,0] neg_hi:[1,0,0]
	v_pk_fma_f32 v[210:211], v[152:153], s[10:11], v[204:205]
	v_pk_fma_f32 v[232:233], v[28:29], s[26:27], v[162:163] neg_lo:[1,0,0] neg_hi:[1,0,0]
	v_mov_b32_e32 v209, v211
	v_pk_add_f32 v[190:191], v[208:209], v[190:191]
	ds_write2_b64 v121, v[168:169], v[190:191] offset0:2 offset1:3
	v_pk_mul_f32 v[168:169], v[166:167], s[8:9]
	v_pk_mul_f32 v[166:167], v[166:167], s[20:21]
	v_pk_fma_f32 v[190:191], v[30:31], s[10:11], v[168:169] neg_lo:[1,0,0] neg_hi:[1,0,0]
	v_pk_fma_f32 v[208:209], v[30:31], s[10:11], v[168:169]
	v_pk_fma_f32 v[230:231], v[30:31], s[38:39], v[166:167]
	v_mov_b32_e32 v191, v209
	v_pk_add_f32 v[190:191], v[24:25], v[190:191]
	v_pk_fma_f32 v[234:235], v[28:29], s[26:27], v[162:163]
	v_pk_add_f32 v[190:191], v[214:215], v[190:191]
	v_pk_mul_f32 v[214:215], v[160:161], s[24:25]
	v_mov_b32_e32 v233, v235
	v_pk_fma_f32 v[218:219], v[142:143], s[36:37], v[214:215] neg_lo:[1,0,0] neg_hi:[1,0,0]
	v_pk_fma_f32 v[220:221], v[142:143], s[36:37], v[214:215]
	v_pk_mul_f32 v[160:161], v[160:161], s[8:9]
	v_mov_b32_e32 v219, v221
	v_pk_add_f32 v[190:191], v[218:219], v[190:191]
	v_pk_mul_f32 v[218:219], v[158:159], s[20:21]
	v_pk_fma_f32 v[236:237], v[142:143], s[10:11], v[160:161]
	v_pk_fma_f32 v[222:223], v[122:123], s[38:39], v[218:219] neg_lo:[1,0,0] neg_hi:[1,0,0]
	v_pk_fma_f32 v[224:225], v[122:123], s[38:39], v[218:219]
	v_pk_mul_f32 v[158:159], v[158:159], s[14:15]
	v_mov_b32_e32 v223, v225
	v_pk_add_f32 v[190:191], v[222:223], v[190:191]
	v_pk_mul_f32 v[222:223], v[128:129], s[14:15]
	v_pk_fma_f32 v[162:163], v[28:29], s[26:27], v[162:163] neg_lo:[0,0,1] neg_hi:[0,0,1]
	v_pk_fma_f32 v[226:227], v[152:153], s[22:23], v[222:223] neg_lo:[1,0,0] neg_hi:[1,0,0]
	v_pk_fma_f32 v[228:229], v[152:153], s[22:23], v[222:223]
	v_pk_fma_f32 v[238:239], v[122:123], s[22:23], v[158:159]
	v_mov_b32_e32 v227, v229
	v_pk_add_f32 v[190:191], v[226:227], v[190:191]
	v_pk_fma_f32 v[226:227], v[30:31], s[38:39], v[166:167] neg_lo:[1,0,0] neg_hi:[1,0,0]
	v_pk_fma_f32 v[166:167], v[30:31], s[38:39], v[166:167] neg_lo:[0,0,1] neg_hi:[0,0,1]
	v_mov_b32_e32 v227, v231
	v_pk_add_f32 v[226:227], v[24:25], v[226:227]
	v_mov_b32_e32 v231, v167
	v_pk_add_f32 v[226:227], v[232:233], v[226:227]
	v_pk_fma_f32 v[232:233], v[142:143], s[10:11], v[160:161] neg_lo:[1,0,0] neg_hi:[1,0,0]
	v_mov_b32_e32 v235, v163
	v_mov_b32_e32 v233, v237
	v_pk_add_f32 v[226:227], v[232:233], v[226:227]
	v_pk_fma_f32 v[232:233], v[122:123], s[22:23], v[158:159] neg_lo:[1,0,0] neg_hi:[1,0,0]
	v_pk_add_f32 v[162:163], v[24:25], v[230:231]
	v_pk_fma_f32 v[160:161], v[142:143], s[10:11], v[160:161] neg_lo:[0,0,1] neg_hi:[0,0,1]
	v_mov_b32_e32 v233, v239
	v_pk_mul_f32 v[128:129], v[128:129], s[16:17]
	v_pk_add_f32 v[162:163], v[234:235], v[162:163]
	v_mov_b32_e32 v237, v161
	v_pk_fma_f32 v[158:159], v[122:123], s[22:23], v[158:159] neg_lo:[0,0,1] neg_hi:[0,0,1]
	v_pk_add_f32 v[226:227], v[232:233], v[226:227]
	v_pk_fma_f32 v[232:233], v[152:153], s[18:19], v[128:129] neg_lo:[1,0,0] neg_hi:[1,0,0]
	v_pk_fma_f32 v[240:241], v[152:153], s[18:19], v[128:129]
	v_pk_add_f32 v[160:161], v[236:237], v[162:163]
	v_mov_b32_e32 v239, v159
	v_pk_fma_f32 v[128:129], v[152:153], s[18:19], v[128:129] neg_lo:[0,0,1] neg_hi:[0,0,1]
	v_mov_b32_e32 v233, v241
	v_pk_add_f32 v[158:159], v[238:239], v[160:161]
	v_mov_b32_e32 v241, v129
	v_pk_add_f32 v[128:129], v[240:241], v[158:159]
	v_pk_fma_f32 v[158:159], v[30:31], s[10:11], v[168:169] neg_lo:[0,0,1] neg_hi:[0,0,1]
	v_pk_fma_f32 v[160:161], v[142:143], s[36:37], v[214:215] neg_lo:[0,0,1] neg_hi:[0,0,1]
	v_mov_b32_e32 v209, v159
	v_pk_fma_f32 v[158:159], v[28:29], s[34:35], v[212:213] neg_lo:[0,0,1] neg_hi:[0,0,1]
	v_mov_b32_e32 v221, v161
	v_mov_b32_e32 v217, v159
	v_pk_add_f32 v[158:159], v[24:25], v[208:209]
	v_pk_fma_f32 v[160:161], v[122:123], s[38:39], v[218:219] neg_lo:[0,0,1] neg_hi:[0,0,1]
	v_pk_add_f32 v[158:159], v[216:217], v[158:159]
	v_mov_b32_e32 v225, v161
	v_pk_add_f32 v[158:159], v[220:221], v[158:159]
	v_pk_fma_f32 v[160:161], v[152:153], s[22:23], v[222:223] neg_lo:[0,0,1] neg_hi:[0,0,1]
	v_pk_add_f32 v[158:159], v[224:225], v[158:159]
	v_mov_b32_e32 v229, v161
	v_pk_add_f32 v[158:159], v[228:229], v[158:159]
	ds_write2_b64 v121, v[128:129], v[158:159] offset0:6 offset1:7
	v_pk_fma_f32 v[158:159], v[142:143], s[22:23], v[196:197] neg_lo:[0,0,1] neg_hi:[0,0,1]
	v_pk_fma_f32 v[128:129], v[30:31], s[18:19], v[186:187] neg_lo:[0,0,1] neg_hi:[0,0,1]
	v_mov_b32_e32 v203, v159
	v_pk_fma_f32 v[158:159], v[122:123], s[36:37], v[200:201] neg_lo:[0,0,1] neg_hi:[0,0,1]
	v_mov_b32_e32 v193, v129
	v_mov_b32_e32 v207, v159
	v_pk_fma_f32 v[158:159], v[152:153], s[10:11], v[204:205] neg_lo:[0,0,1] neg_hi:[0,0,1]
	v_pk_fma_f32 v[128:129], v[28:29], s[30:31], v[194:195] neg_lo:[0,0,1] neg_hi:[0,0,1]
	v_mov_b32_e32 v211, v159
	v_pk_fma_f32 v[158:159], v[30:31], s[28:29], v[164:165] neg_lo:[0,0,1] neg_hi:[0,0,1]
	v_mov_b32_e32 v199, v129
	v_mov_b32_e32 v171, v159
	v_pk_fma_f32 v[158:159], v[28:29], s[10:11], v[172:173] neg_lo:[0,0,1] neg_hi:[0,0,1]
	v_pk_add_f32 v[128:129], v[24:25], v[192:193]
	v_mov_b32_e32 v177, v159
	v_pk_add_f32 v[158:159], v[24:25], v[170:171]
	v_pk_fma_f32 v[160:161], v[142:143], s[30:31], v[174:175] neg_lo:[0,0,1] neg_hi:[0,0,1]
	v_pk_add_f32 v[128:129], v[198:199], v[128:129]
	v_pk_add_f32 v[158:159], v[176:177], v[158:159]
	v_mov_b32_e32 v181, v161
	v_pk_fma_f32 v[160:161], v[122:123], s[34:35], v[178:179] neg_lo:[0,0,1] neg_hi:[0,0,1]
	v_pk_add_f32 v[128:129], v[202:203], v[128:129]
	v_pk_add_f32 v[158:159], v[180:181], v[158:159]
	v_mov_b32_e32 v185, v161
	;; [unrolled: 4-line block ×4, first 2 shown]
	v_mov_b32_e32 v30, v106
	v_mov_b32_e32 v31, v113
	ds_write2_b64 v121, v[128:129], v[158:159] offset0:8 offset1:9
	v_pk_add_f32 v[30:31], v[30:31], v[4:5]
	v_mov_b32_e32 v128, v108
	v_mov_b32_e32 v129, v111
	v_pk_add_f32 v[30:31], v[128:129], v[30:31]
	v_mov_b32_e32 v128, v150
	v_mov_b32_e32 v129, v43
	v_pk_add_f32 v[24:25], v[24:25], v[136:137]
	v_pk_add_f32 v[128:129], v[128:129], v[4:5]
	v_mov_b32_e32 v136, v38
	v_mov_b32_e32 v137, v41
	v_pk_fma_f32 v[28:29], v[28:29], s[28:29], v[140:141] neg_lo:[0,0,1] neg_hi:[0,0,1]
	v_pk_add_f32 v[128:129], v[136:137], v[128:129]
	v_mov_b32_e32 v136, v118
	v_mov_b32_e32 v137, v125
	;; [unrolled: 1-line block ×3, first 2 shown]
	v_pk_fma_f32 v[2:3], v[142:143], s[18:19], v[2:3] neg_lo:[0,0,1] neg_hi:[0,0,1]
	v_pk_add_f32 v[30:31], v[136:137], v[30:31]
	v_mov_b32_e32 v136, v34
	v_mov_b32_e32 v137, v37
	v_pk_add_f32 v[24:25], v[138:139], v[24:25]
	v_mov_b32_e32 v1, v3
	v_pk_fma_f32 v[2:3], v[122:123], s[10:11], v[148:149] neg_lo:[0,0,1] neg_hi:[0,0,1]
	v_pk_add_f32 v[128:129], v[136:137], v[128:129]
	v_mov_b32_e32 v136, v126
	v_mov_b32_e32 v137, v131
	v_pk_add_f32 v[0:1], v[0:1], v[24:25]
	v_mov_b32_e32 v147, v3
	v_pk_fma_f32 v[2:3], v[152:153], s[38:39], v[156:157] neg_lo:[0,0,1] neg_hi:[0,0,1]
	v_accvgpr_read_b32 v173, a7
	v_pk_add_f32 v[30:31], v[136:137], v[30:31]
	v_mov_b32_e32 v136, v114
	v_mov_b32_e32 v137, v117
	v_pk_add_f32 v[0:1], v[146:147], v[0:1]
	v_mov_b32_e32 v155, v3
	v_accvgpr_read_b32 v172, a6
	v_pk_add_f32 v[128:129], v[136:137], v[128:129]
	v_mov_b32_e32 v136, v132
	v_mov_b32_e32 v137, v135
	v_pk_add_f32 v[0:1], v[154:155], v[0:1]
	s_mov_b64 s[28:29], 0x63
	v_pk_add_f32 v[30:31], v[136:137], v[30:31]
	ds_write_b64 v121, v[0:1] offset:80
	v_mov_b32_e32 v0, v26
	v_mov_b32_e32 v1, v33
	v_lshl_add_u64 v[28:29], v[172:173], 0, s[28:29]
	v_mov_b64_e32 v[174:175], v[242:243]
	v_accvgpr_write_b32 a33, v31
	v_pk_add_f32 v[146:147], v[0:1], v[128:129]
	v_mul_u32_u24_e32 v0, 11, v28
	v_pk_add_f32 v[226:227], v[232:233], v[226:227]
	v_mov_b64_e32 v[176:177], v[244:245]
	v_accvgpr_write_b32 a32, v30
	v_accvgpr_write_b32 a39, v0
	ds_write2_b64 v121, v[190:191], v[226:227] offset0:4 offset1:5
	s_and_saveexec_b64 s[28:29], vcc
	s_cbranch_execz .LBB0_7
; %bb.6:
	v_pk_add_f32 v[6:7], v[6:7], v[4:5]
	v_mov_b32_e32 v113, v107
	v_pk_add_f32 v[6:7], v[16:17], v[6:7]
	v_mov_b32_e32 v111, v109
	;; [unrolled: 2-line block ×3, first 2 shown]
	v_pk_add_f32 v[6:7], v[8:9], v[6:7]
	v_pk_add_f32 v[8:9], v[112:113], v[4:5]
	;; [unrolled: 1-line block ×7, first 2 shown]
	v_mov_b32_e32 v131, v127
	v_pk_add_f32 v[6:7], v[20:21], v[6:7]
	v_accvgpr_read_b32 v26, a39
	v_pk_add_f32 v[6:7], v[22:23], v[6:7]
	v_pk_add_f32 v[8:9], v[130:131], v[8:9]
	v_mov_b32_e32 v135, v133
	v_lshlrev_b32_e32 v29, 3, v26
	v_pk_add_f32 v[6:7], v[44:45], v[6:7]
	v_pk_add_f32 v[8:9], v[134:135], v[8:9]
	v_mov_b32_e32 v61, v59
	v_mov_b32_e32 v57, v55
	ds_write2_b64 v29, v[6:7], v[8:9] offset1:1
	v_pk_add_f32 v[6:7], v[60:61], v[4:5]
	v_mov_b32_e32 v73, v71
	v_pk_add_f32 v[8:9], v[56:57], v[4:5]
	v_mov_b32_e32 v65, v63
	;; [unrolled: 2-line block ×6, first 2 shown]
	v_mov_b32_e32 v0, v67
	v_mov_b32_e32 v1, v66
	v_pk_add_f32 v[6:7], v[94:95], v[6:7]
	v_mov_b32_e32 v103, v101
	v_pk_add_f32 v[8:9], v[90:91], v[8:9]
	v_mov_b32_e32 v99, v97
	v_mov_b32_e32 v2, v75
	v_mov_b32_e32 v3, v74
	v_pk_add_f32 v[6:7], v[102:103], v[6:7]
	v_pk_add_f32 v[8:9], v[98:99], v[8:9]
	v_pk_mul_f32 v[0:1], v[0:1], s[38:39] op_sel_hi:[1,0]
	ds_write2_b64 v29, v[6:7], v[8:9] offset0:2 offset1:3
	v_pk_fma_f32 v[8:9], v[50:51], s[20:21], v[0:1] op_sel_hi:[1,0,1] neg_lo:[0,0,1] neg_hi:[0,0,1]
	v_pk_fma_f32 v[0:1], v[50:51], s[20:21], v[0:1] op_sel_hi:[1,0,1]
	v_pk_mul_f32 v[2:3], v[2:3], s[26:27] op_sel_hi:[1,0]
	v_mov_b32_e32 v10, v8
	v_mov_b32_e32 v11, v1
	v_pk_fma_f32 v[12:13], v[52:53], s[24:25], v[2:3] op_sel_hi:[1,0,1] neg_lo:[0,0,1] neg_hi:[0,0,1]
	v_pk_fma_f32 v[2:3], v[52:53], s[24:25], v[2:3] op_sel_hi:[1,0,1]
	v_mov_b32_e32 v24, v77
	v_mov_b32_e32 v25, v76
	v_pk_add_f32 v[10:11], v[10:11], v[4:5]
	v_mov_b32_e32 v14, v12
	v_mov_b32_e32 v15, v3
	v_pk_add_f32 v[10:11], v[14:15], v[10:11]
	v_pk_mul_f32 v[14:15], v[24:25], s[10:11] op_sel_hi:[1,0]
	v_mov_b32_e32 v66, v79
	v_pk_fma_f32 v[16:17], v[48:49], s[8:9], v[14:15] op_sel_hi:[1,0,1] neg_lo:[0,0,1] neg_hi:[0,0,1]
	v_pk_fma_f32 v[14:15], v[48:49], s[8:9], v[14:15] op_sel_hi:[1,0,1]
	v_mov_b32_e32 v67, v78
	v_mov_b32_e32 v18, v16
	;; [unrolled: 1-line block ×3, first 2 shown]
	v_pk_add_f32 v[10:11], v[18:19], v[10:11]
	v_pk_mul_f32 v[18:19], v[66:67], s[22:23] op_sel_hi:[1,0]
	v_mov_b32_e32 v43, v151
	v_pk_fma_f32 v[20:21], v[46:47], s[14:15], v[18:19] op_sel_hi:[1,0,1] neg_lo:[0,0,1] neg_hi:[0,0,1]
	v_pk_fma_f32 v[18:19], v[46:47], s[14:15], v[18:19] op_sel_hi:[1,0,1]
	v_mov_b32_e32 v1, v9
	v_mov_b32_e32 v74, v105
	;; [unrolled: 1-line block ×3, first 2 shown]
	v_pk_add_f32 v[6:7], v[42:43], v[4:5]
	v_mov_b32_e32 v41, v39
	v_mov_b32_e32 v22, v20
	v_mov_b32_e32 v23, v19
	v_pk_add_f32 v[0:1], v[0:1], v[4:5]
	v_mov_b32_e32 v3, v13
	v_pk_add_f32 v[6:7], v[40:41], v[6:7]
	v_mov_b32_e32 v37, v35
	v_pk_add_f32 v[10:11], v[22:23], v[10:11]
	v_pk_mul_f32 v[22:23], v[74:75], s[18:19] op_sel_hi:[1,0]
	v_pk_add_f32 v[0:1], v[2:3], v[0:1]
	v_mov_b32_e32 v15, v17
	v_pk_add_f32 v[6:7], v[36:37], v[6:7]
	v_mov_b32_e32 v117, v115
	v_pk_fma_f32 v[24:25], v[68:69], s[16:17], v[22:23] op_sel_hi:[1,0,1] neg_lo:[0,0,1] neg_hi:[0,0,1]
	v_pk_fma_f32 v[22:23], v[68:69], s[16:17], v[22:23] op_sel_hi:[1,0,1]
	v_pk_add_f32 v[0:1], v[14:15], v[0:1]
	v_mov_b32_e32 v19, v21
	v_pk_add_f32 v[6:7], v[116:117], v[6:7]
	v_mov_b32_e32 v33, v27
	v_mov_b32_e32 v26, v24
	;; [unrolled: 1-line block ×3, first 2 shown]
	v_pk_add_f32 v[0:1], v[18:19], v[0:1]
	v_mov_b32_e32 v23, v25
	v_pk_add_f32 v[6:7], v[32:33], v[6:7]
	v_pk_add_f32 v[10:11], v[26:27], v[10:11]
	;; [unrolled: 1-line block ×3, first 2 shown]
	ds_write2_b64 v29, v[6:7], v[10:11] offset0:4 offset1:5
	ds_write2_b64 v29, v[0:1], v[146:147] offset0:6 offset1:7
	;; [unrolled: 1-line block ×3, first 2 shown]
	ds_write_b64 v29, a[32:33] offset:80
.LBB0_7:
	s_or_b64 exec, exec, s[28:29]
	v_add_u32_e32 v60, 0x1ef, v172
	s_mov_b32 s10, 0xba2f
	v_mul_u32_u24_sdwa v0, v60, s10 dst_sel:DWORD dst_unused:UNUSED_PAD src0_sel:WORD_0 src1_sel:DWORD
	v_lshrrev_b32_e32 v1, 19, v0
	v_mul_lo_u16_e32 v0, 11, v1
	v_sub_u16_e32 v16, v60, v0
	v_lshlrev_b16_e32 v0, 1, v16
	v_lshlrev_b32_e32 v0, 3, v0
	v_add_u32_e32 v61, 0x18c, v172
	s_waitcnt lgkmcnt(0)
	s_barrier
	global_load_dwordx4 v[20:23], v0, s[0:1]
	v_mul_u32_u24_sdwa v0, v61, s10 dst_sel:DWORD dst_unused:UNUSED_PAD src0_sel:WORD_0 src1_sel:DWORD
	v_lshrrev_b32_e32 v17, 19, v0
	v_mul_lo_u16_e32 v0, 11, v17
	v_sub_u16_e32 v18, v61, v0
	v_lshlrev_b16_e32 v0, 1, v18
	v_lshlrev_b32_e32 v0, 3, v0
	global_load_dwordx4 v[12:15], v0, s[0:1]
	s_mov_b64 s[8:9], 0xc6
	v_lshl_add_u64 v[76:77], v[172:173], 0, s[8:9]
	v_add_u32_e32 v62, 0x129, v172
	v_mul_u32_u24_sdwa v2, v76, s10 dst_sel:DWORD dst_unused:UNUSED_PAD src0_sel:WORD_0 src1_sel:DWORD
	v_mul_u32_u24_sdwa v0, v62, s10 dst_sel:DWORD dst_unused:UNUSED_PAD src0_sel:WORD_0 src1_sel:DWORD
	v_lshrrev_b32_e32 v24, 19, v2
	v_lshrrev_b32_e32 v19, 19, v0
	v_mul_lo_u16_e32 v2, 11, v24
	v_mul_lo_u16_e32 v0, 11, v19
	v_sub_u16_e32 v26, v76, v2
	v_sub_u16_e32 v25, v62, v0
	v_lshlrev_b16_e32 v2, 1, v26
	v_lshlrev_b16_e32 v0, 1, v25
	v_lshlrev_b32_e32 v2, 3, v2
	v_lshlrev_b32_e32 v0, 3, v0
	global_load_dwordx4 v[4:7], v2, s[0:1]
	global_load_dwordx4 v[8:11], v0, s[0:1]
	s_movk_i32 s9, 0x75
	v_mul_lo_u16_sdwa v27, v172, s9 dst_sel:DWORD dst_unused:UNUSED_PAD src0_sel:BYTE_0 src1_sel:DWORD
	v_mul_lo_u16_sdwa v30, v28, s9 dst_sel:DWORD dst_unused:UNUSED_PAD src0_sel:BYTE_0 src1_sel:DWORD
	v_sub_u16_sdwa v31, v172, v27 dst_sel:DWORD dst_unused:UNUSED_PAD src0_sel:DWORD src1_sel:BYTE_1
	v_sub_u16_sdwa v44, v28, v30 dst_sel:DWORD dst_unused:UNUSED_PAD src0_sel:DWORD src1_sel:BYTE_1
	v_lshrrev_b16_e32 v31, 1, v31
	v_lshrrev_b16_e32 v44, 1, v44
	v_and_b32_e32 v31, 0x7f, v31
	v_and_b32_e32 v44, 0x7f, v44
	v_add_u16_sdwa v27, v31, v27 dst_sel:DWORD dst_unused:UNUSED_PAD src0_sel:DWORD src1_sel:BYTE_1
	v_add_u16_sdwa v30, v44, v30 dst_sel:DWORD dst_unused:UNUSED_PAD src0_sel:DWORD src1_sel:BYTE_1
	v_lshrrev_b16_e32 v45, 3, v27
	v_mad_legacy_u16 v1, v1, 33, v16
	v_lshrrev_b16_e32 v30, 3, v30
	v_mul_lo_u16_e32 v16, 11, v45
	v_mad_legacy_u16 v44, v17, 33, v18
	v_mul_lo_u16_e32 v17, 11, v30
	v_sub_u16_e32 v16, v172, v16
	v_sub_u16_e32 v17, v28, v17
	v_and_b32_e32 v47, 0xff, v16
	v_add_u32_e32 v2, 0x800, v120
	v_and_b32_e32 v48, 0xff, v17
	v_lshlrev_b32_e32 v49, 4, v47
	v_add_u32_e32 v3, 0x1c00, v120
	v_add_u32_e32 v0, 0x3000, v120
	ds_read2_b64 v[32:35], v2 offset0:140 offset1:239
	ds_read2_b64 v[36:39], v3 offset0:94 offset1:193
	;; [unrolled: 1-line block ×3, first 2 shown]
	v_mad_legacy_u16 v31, v19, 33, v25
	v_mad_legacy_u16 v46, v24, 33, v26
	v_lshlrev_b32_e32 v50, 4, v48
	global_load_dwordx4 v[16:19], v49, s[0:1]
	global_load_dwordx4 v[24:27], v50, s[0:1]
	v_lshlrev_b32_e32 v173, 3, v31
	v_lshlrev_b32_e32 v171, 3, v44
	;; [unrolled: 1-line block ×3, first 2 shown]
	v_mul_u32_u24_e32 v1, 33, v45
	v_lshlrev_b32_e32 v31, 3, v46
	s_mov_b32 s8, 0x3f5db3d7
	v_add_lshl_u32 v63, v1, v47, 3
	v_add_u32_e32 v1, 0x1800, v120
	v_add_u32_e32 v116, 0x2800, v120
	v_mul_u32_u24_e32 v30, 33, v30
	v_add_lshl_u32 v30, v30, v48, 3
	v_add_u32_e32 v100, 0x400, v120
	v_add_u32_e32 v101, 0x1000, v120
	;; [unrolled: 1-line block ×3, first 2 shown]
	v_accvgpr_write_b32 a15, v30
	v_accvgpr_write_b32 a7, v31
	v_mov_b32_e32 v29, 0
	v_accvgpr_write_b32 a28, v63
	s_movk_i32 s11, 0x2000
	s_movk_i32 s10, 0x3000
	;; [unrolled: 1-line block ×3, first 2 shown]
	s_waitcnt vmcnt(5) lgkmcnt(1)
	v_pk_mul_f32 v[44:45], v[38:39], v[20:21] op_sel:[0,1]
	v_mov_b32_e32 v46, v23
	v_pk_fma_f32 v[52:53], v[38:39], v[20:21], v[44:45] op_sel:[0,0,1] op_sel_hi:[1,1,0] neg_lo:[0,0,1] neg_hi:[0,0,1]
	v_pk_fma_f32 v[38:39], v[38:39], v[20:21], v[44:45] op_sel:[0,0,1] op_sel_hi:[1,0,0]
	s_waitcnt lgkmcnt(0)
	v_pk_mul_f32 v[44:45], v[42:43], v[46:47] op_sel_hi:[1,0]
	v_mov_b32_e32 v53, v39
	v_pk_fma_f32 v[54:55], v[42:43], v[22:23], v[44:45] op_sel:[0,0,1] op_sel_hi:[1,1,0] neg_lo:[0,0,1] neg_hi:[0,0,1]
	v_pk_fma_f32 v[38:39], v[42:43], v[22:23], v[44:45] op_sel:[0,0,1] op_sel_hi:[1,0,0]
	ds_read2_b64 v[44:47], v116 offset0:106 offset1:205
	v_mov_b32_e32 v55, v39
	v_pk_add_f32 v[38:39], v[52:53], v[54:55]
	v_pk_add_f32 v[42:43], v[52:53], v[54:55] neg_lo:[0,1] neg_hi:[0,1]
	v_pk_fma_f32 v[38:39], v[38:39], 0.5, v[34:35] op_sel_hi:[1,0,1] neg_lo:[1,0,0] neg_hi:[1,0,0]
	v_pk_mul_f32 v[42:43], v[42:43], s[8:9] op_sel_hi:[1,0]
	s_nop 0
	v_pk_add_f32 v[56:57], v[38:39], v[42:43] op_sel:[0,1] op_sel_hi:[1,0] neg_lo:[0,1] neg_hi:[0,1]
	v_pk_add_f32 v[58:59], v[38:39], v[42:43] op_sel:[0,1] op_sel_hi:[1,0]
	s_waitcnt vmcnt(4)
	v_pk_mul_f32 v[38:39], v[36:37], v[12:13] op_sel:[0,1]
	s_nop 0
	v_pk_fma_f32 v[64:65], v[36:37], v[12:13], v[38:39] op_sel:[0,0,1] op_sel_hi:[1,1,0] neg_lo:[0,0,1] neg_hi:[0,0,1]
	v_pk_fma_f32 v[36:37], v[36:37], v[12:13], v[38:39] op_sel:[0,0,1] op_sel_hi:[1,0,0]
	s_nop 0
	v_mov_b32_e32 v36, v15
	v_mov_b32_e32 v65, v37
	v_pk_mul_f32 v[36:37], v[40:41], v[36:37] op_sel_hi:[1,0]
	s_nop 0
	v_pk_fma_f32 v[66:67], v[40:41], v[14:15], v[36:37] op_sel:[0,0,1] op_sel_hi:[1,1,0] neg_lo:[0,0,1] neg_hi:[0,0,1]
	v_pk_fma_f32 v[36:37], v[40:41], v[14:15], v[36:37] op_sel:[0,0,1] op_sel_hi:[1,0,0]
	ds_read2_b64 v[40:43], v100 offset0:70 offset1:169
	v_mov_b32_e32 v67, v37
	v_pk_add_f32 v[36:37], v[64:65], v[66:67]
	v_pk_add_f32 v[38:39], v[64:65], v[66:67] neg_lo:[0,1] neg_hi:[0,1]
	v_pk_fma_f32 v[36:37], v[36:37], 0.5, v[32:33] op_sel_hi:[1,0,1] neg_lo:[1,0,0] neg_hi:[1,0,0]
	v_pk_mul_f32 v[38:39], v[38:39], s[8:9] op_sel_hi:[1,0]
	v_pk_add_f32 v[32:33], v[32:33], v[64:65]
	v_pk_add_f32 v[68:69], v[36:37], v[38:39] op_sel:[0,1] op_sel_hi:[1,0] neg_lo:[0,1] neg_hi:[0,1]
	v_pk_add_f32 v[70:71], v[36:37], v[38:39] op_sel:[0,1] op_sel_hi:[1,0]
	ds_read2_b64 v[36:39], v1 offset0:24 offset1:123
	v_pk_add_f32 v[32:33], v[32:33], v[66:67]
	s_waitcnt vmcnt(2) lgkmcnt(0)
	v_pk_mul_f32 v[48:49], v[38:39], v[8:9] op_sel:[0,1]
	s_nop 0
	v_pk_fma_f32 v[72:73], v[38:39], v[8:9], v[48:49] op_sel:[0,0,1] op_sel_hi:[1,1,0] neg_lo:[0,0,1] neg_hi:[0,0,1]
	v_pk_fma_f32 v[38:39], v[38:39], v[8:9], v[48:49] op_sel:[0,0,1] op_sel_hi:[1,0,0]
	ds_read2_b64 v[48:51], v102 offset0:36 offset1:135
	v_mov_b32_e32 v38, v11
	v_mov_b32_e32 v73, v39
	v_pk_mul_f32 v[38:39], v[46:47], v[38:39] op_sel_hi:[1,0]
	s_nop 0
	v_pk_fma_f32 v[74:75], v[46:47], v[10:11], v[38:39] op_sel:[0,0,1] op_sel_hi:[1,1,0] neg_lo:[0,0,1] neg_hi:[0,0,1]
	v_pk_fma_f32 v[38:39], v[46:47], v[10:11], v[38:39] op_sel:[0,0,1] op_sel_hi:[1,0,0]
	s_nop 0
	v_mov_b32_e32 v75, v39
	v_pk_add_f32 v[38:39], v[72:73], v[74:75]
	v_pk_add_f32 v[46:47], v[72:73], v[74:75] neg_lo:[0,1] neg_hi:[0,1]
	v_pk_fma_f32 v[38:39], v[38:39], 0.5, v[42:43] op_sel_hi:[1,0,1] neg_lo:[1,0,0] neg_hi:[1,0,0]
	v_pk_mul_f32 v[46:47], v[46:47], s[8:9] op_sel_hi:[1,0]
	s_nop 0
	v_pk_add_f32 v[78:79], v[38:39], v[46:47] op_sel:[0,1] op_sel_hi:[1,0] neg_lo:[0,1] neg_hi:[0,1]
	v_pk_add_f32 v[80:81], v[38:39], v[46:47] op_sel:[0,1] op_sel_hi:[1,0]
	v_pk_mul_f32 v[38:39], v[36:37], v[4:5] op_sel:[0,1]
	s_nop 0
	v_pk_fma_f32 v[82:83], v[36:37], v[4:5], v[38:39] op_sel:[0,0,1] op_sel_hi:[1,1,0] neg_lo:[0,0,1] neg_hi:[0,0,1]
	v_pk_fma_f32 v[36:37], v[36:37], v[4:5], v[38:39] op_sel:[0,0,1] op_sel_hi:[1,0,0]
	s_nop 0
	v_mov_b32_e32 v36, v7
	v_mov_b32_e32 v83, v37
	v_pk_mul_f32 v[36:37], v[44:45], v[36:37] op_sel_hi:[1,0]
	s_nop 0
	v_pk_fma_f32 v[84:85], v[44:45], v[6:7], v[36:37] op_sel:[0,0,1] op_sel_hi:[1,1,0] neg_lo:[0,0,1] neg_hi:[0,0,1]
	v_pk_fma_f32 v[36:37], v[44:45], v[6:7], v[36:37] op_sel:[0,0,1] op_sel_hi:[1,0,0]
	s_nop 0
	v_mov_b32_e32 v85, v37
	v_pk_add_f32 v[36:37], v[82:83], v[84:85]
	s_nop 0
	v_pk_fma_f32 v[44:45], v[36:37], 0.5, v[40:41] op_sel_hi:[1,0,1] neg_lo:[1,0,0] neg_hi:[1,0,0]
	v_pk_add_f32 v[36:37], v[82:83], v[84:85] neg_lo:[0,1] neg_hi:[0,1]
	s_nop 0
	v_pk_mul_f32 v[46:47], v[36:37], s[8:9] op_sel_hi:[1,0]
	ds_read2_b64 v[36:39], v101 offset0:82 offset1:181
	v_pk_add_f32 v[86:87], v[44:45], v[46:47] op_sel:[0,1] op_sel_hi:[1,0] neg_lo:[0,1] neg_hi:[0,1]
	v_pk_add_f32 v[88:89], v[44:45], v[46:47] op_sel:[0,1] op_sel_hi:[1,0]
	ds_read2_b64 v[44:47], v120 offset1:99
	s_waitcnt vmcnt(0) lgkmcnt(0)
	v_pk_mul_f32 v[90:91], v[38:39], v[24:25] op_sel:[0,1]
	s_barrier
	v_pk_fma_f32 v[92:93], v[38:39], v[24:25], v[90:91] op_sel:[0,0,1] op_sel_hi:[1,1,0] neg_lo:[0,0,1] neg_hi:[0,0,1]
	v_pk_fma_f32 v[38:39], v[38:39], v[24:25], v[90:91] op_sel:[0,0,1] op_sel_hi:[1,0,0]
	s_nop 0
	v_mov_b32_e32 v38, v27
	v_mov_b32_e32 v93, v39
	v_pk_mul_f32 v[38:39], v[50:51], v[38:39] op_sel_hi:[1,0]
	s_nop 0
	v_pk_fma_f32 v[90:91], v[50:51], v[26:27], v[38:39] op_sel:[0,0,1] op_sel_hi:[1,1,0] neg_lo:[0,0,1] neg_hi:[0,0,1]
	v_pk_fma_f32 v[38:39], v[50:51], v[26:27], v[38:39] op_sel:[0,0,1] op_sel_hi:[1,0,0]
	v_pk_mul_f32 v[50:51], v[36:37], v[16:17] op_sel:[0,1]
	v_mov_b32_e32 v91, v39
	v_pk_fma_f32 v[94:95], v[36:37], v[16:17], v[50:51] op_sel:[0,0,1] op_sel_hi:[1,1,0] neg_lo:[0,0,1] neg_hi:[0,0,1]
	v_pk_fma_f32 v[36:37], v[36:37], v[16:17], v[50:51] op_sel:[0,0,1] op_sel_hi:[1,0,0]
	v_pk_add_f32 v[38:39], v[46:47], v[92:93]
	v_mov_b32_e32 v36, v19
	v_mov_b32_e32 v95, v37
	v_pk_mul_f32 v[36:37], v[48:49], v[36:37] op_sel_hi:[1,0]
	v_pk_add_f32 v[38:39], v[38:39], v[90:91]
	v_pk_fma_f32 v[50:51], v[48:49], v[18:19], v[36:37] op_sel:[0,0,1] op_sel_hi:[1,1,0] neg_lo:[0,0,1] neg_hi:[0,0,1]
	v_pk_fma_f32 v[36:37], v[48:49], v[18:19], v[36:37] op_sel:[0,0,1] op_sel_hi:[1,0,0]
	s_nop 0
	v_mov_b32_e32 v51, v37
	v_pk_add_f32 v[48:49], v[94:95], v[50:51]
	v_pk_add_f32 v[36:37], v[44:45], v[94:95]
	v_pk_fma_f32 v[44:45], v[48:49], 0.5, v[44:45] op_sel_hi:[1,0,1] neg_lo:[1,0,0] neg_hi:[1,0,0]
	v_pk_add_f32 v[48:49], v[94:95], v[50:51] neg_lo:[0,1] neg_hi:[0,1]
	v_pk_add_f32 v[36:37], v[36:37], v[50:51]
	v_pk_mul_f32 v[48:49], v[48:49], s[8:9] op_sel_hi:[1,0]
	s_nop 0
	v_pk_add_f32 v[50:51], v[44:45], v[48:49] op_sel:[0,1] op_sel_hi:[1,0]
	v_pk_add_f32 v[44:45], v[44:45], v[48:49] op_sel:[0,1] op_sel_hi:[1,0] neg_lo:[0,1] neg_hi:[0,1]
	v_mov_b32_e32 v48, v50
	v_mov_b32_e32 v49, v45
	;; [unrolled: 1-line block ×3, first 2 shown]
	ds_write2_b64 v63, v[36:37], v[48:49] offset1:11
	ds_write_b64 v63, v[44:45] offset:176
	v_pk_add_f32 v[36:37], v[92:93], v[90:91]
	v_pk_add_f32 v[44:45], v[92:93], v[90:91] neg_lo:[0,1] neg_hi:[0,1]
	v_pk_fma_f32 v[36:37], v[36:37], 0.5, v[46:47] op_sel_hi:[1,0,1] neg_lo:[1,0,0] neg_hi:[1,0,0]
	v_pk_mul_f32 v[44:45], v[44:45], s[8:9] op_sel_hi:[1,0]
	s_mov_b32 s9, 0xf83f
	v_pk_add_f32 v[46:47], v[36:37], v[44:45] op_sel:[0,1] op_sel_hi:[1,0]
	v_pk_add_f32 v[36:37], v[36:37], v[44:45] op_sel:[0,1] op_sel_hi:[1,0] neg_lo:[0,1] neg_hi:[0,1]
	v_mov_b32_e32 v44, v46
	v_mov_b32_e32 v45, v37
	;; [unrolled: 1-line block ×3, first 2 shown]
	ds_write_b64 v30, v[36:37] offset:176
	v_pk_add_f32 v[36:37], v[40:41], v[82:83]
	ds_write2_b64 v30, v[38:39], v[44:45] offset1:11
	v_pk_add_f32 v[36:37], v[36:37], v[84:85]
	v_mov_b32_e32 v38, v88
	v_mov_b32_e32 v39, v87
	ds_write2_b64 v31, v[36:37], v[38:39] offset1:11
	v_pk_add_f32 v[36:37], v[42:43], v[72:73]
	v_mov_b32_e32 v87, v89
	v_pk_add_f32 v[36:37], v[36:37], v[74:75]
	v_mov_b32_e32 v38, v80
	v_mov_b32_e32 v39, v79
	v_mul_u32_u24_sdwa v30, v60, s9 dst_sel:DWORD dst_unused:UNUSED_PAD src0_sel:WORD_0 src1_sel:DWORD
	ds_write_b64 v31, v[86:87] offset:176
	ds_write2_b64 v173, v[36:37], v[38:39] offset1:11
	v_mov_b32_e32 v79, v81
	v_mov_b32_e32 v36, v70
	;; [unrolled: 1-line block ×3, first 2 shown]
	v_lshrrev_b32_e32 v30, 21, v30
	ds_write_b64 v173, v[78:79] offset:176
	ds_write2_b64 v171, v[32:33], v[36:37] offset1:11
	v_pk_add_f32 v[32:33], v[34:35], v[52:53]
	v_mul_lo_u16_e32 v31, 33, v30
	v_mov_b32_e32 v69, v71
	v_pk_add_f32 v[32:33], v[32:33], v[54:55]
	v_mov_b32_e32 v34, v58
	v_mov_b32_e32 v35, v57
	v_sub_u16_e32 v31, v60, v31
	ds_write_b64 v171, v[68:69] offset:176
	ds_write2_b64 v170, v[32:33], v[34:35] offset1:11
	v_lshlrev_b16_e32 v32, 4, v31
	v_mov_b32_e32 v33, v29
	v_mov_b32_e32 v57, v59
	v_lshl_add_u64 v[32:33], s[0:1], 0, v[32:33]
	ds_write_b64 v170, v[56:57] offset:176
	s_waitcnt lgkmcnt(0)
	s_barrier
	global_load_dwordx4 v[52:55], v[32:33], off offset:176
	v_mul_u32_u24_sdwa v32, v61, s9 dst_sel:DWORD dst_unused:UNUSED_PAD src0_sel:WORD_0 src1_sel:DWORD
	v_lshrrev_b32_e32 v56, 21, v32
	v_mul_lo_u16_e32 v32, 33, v56
	v_sub_u16_e32 v57, v61, v32
	v_lshlrev_b16_e32 v32, 4, v57
	v_mov_b32_e32 v33, v29
	v_lshl_add_u64 v[32:33], s[0:1], 0, v[32:33]
	global_load_dwordx4 v[48:51], v[32:33], off offset:176
	v_mul_u32_u24_sdwa v32, v62, s9 dst_sel:DWORD dst_unused:UNUSED_PAD src0_sel:WORD_0 src1_sel:DWORD
	v_lshrrev_b32_e32 v58, 21, v32
	v_mul_lo_u16_e32 v32, 33, v58
	v_sub_u16_e32 v59, v62, v32
	v_lshlrev_b16_e32 v32, 4, v59
	v_mov_b32_e32 v33, v29
	v_lshl_add_u64 v[32:33], s[0:1], 0, v[32:33]
	;; [unrolled: 8-line block ×3, first 2 shown]
	global_load_dwordx4 v[40:43], v[32:33], off offset:176
	s_movk_i32 s9, 0xf9
	v_mul_lo_u16_sdwa v32, v172, s9 dst_sel:DWORD dst_unused:UNUSED_PAD src0_sel:BYTE_0 src1_sel:DWORD
	v_lshrrev_b16_e32 v65, 13, v32
	v_mul_lo_u16_e32 v32, 33, v65
	v_sub_u16_e32 v32, v172, v32
	v_and_b32_e32 v66, 0xff, v32
	v_mul_lo_u16_sdwa v32, v28, s9 dst_sel:DWORD dst_unused:UNUSED_PAD src0_sel:BYTE_0 src1_sel:DWORD
	v_lshrrev_b16_e32 v68, 13, v32
	v_mul_lo_u16_e32 v32, 33, v68
	v_sub_u16_e32 v32, v28, v32
	v_lshlrev_b32_e32 v67, 4, v66
	v_and_b32_e32 v69, 0xff, v32
	v_lshlrev_b32_e32 v70, 4, v69
	global_load_dwordx4 v[32:35], v67, s[0:1] offset:176
	global_load_dwordx4 v[36:39], v70, s[0:1] offset:176
	s_movk_i32 s9, 0x63
	v_mad_legacy_u16 v63, v63, s9, v64
	v_mad_legacy_u16 v58, v58, s9, v59
	;; [unrolled: 1-line block ×3, first 2 shown]
	v_lshlrev_b32_e32 v103, 3, v63
	v_lshlrev_b32_e32 v77, 3, v58
	v_lshlrev_b32_e32 v63, 3, v56
	ds_read2_b64 v[56:59], v3 offset0:94 offset1:193
	v_mul_u32_u24_e32 v65, 0x63, v65
	v_add_lshl_u32 v128, v65, v66, 3
	v_mul_u32_u24_e32 v65, 0x63, v68
	v_add_lshl_u32 v117, v65, v69, 3
	ds_read2_b64 v[64:67], v2 offset0:140 offset1:239
	ds_read2_b64 v[68:71], v0 offset0:48 offset1:147
	v_mad_legacy_u16 v30, v30, s9, v31
	v_lshlrev_b32_e32 v30, 3, v30
	v_accvgpr_write_b32 a29, v30
	v_accvgpr_write_b32 a31, v77
	;; [unrolled: 1-line block ×6, first 2 shown]
	v_lshlrev_b32_e32 v28, 4, v28
	s_waitcnt vmcnt(5) lgkmcnt(2)
	v_pk_mul_f32 v[72:73], v[58:59], v[52:53] op_sel:[0,1]
	s_nop 0
	v_pk_fma_f32 v[82:83], v[58:59], v[52:53], v[72:73] op_sel:[0,0,1] op_sel_hi:[1,1,0] neg_lo:[0,0,1] neg_hi:[0,0,1]
	v_pk_fma_f32 v[58:59], v[58:59], v[52:53], v[72:73] op_sel:[0,0,1] op_sel_hi:[1,0,0]
	s_nop 0
	v_mov_b32_e32 v58, v55
	v_mov_b32_e32 v83, v59
	s_waitcnt lgkmcnt(0)
	v_pk_mul_f32 v[58:59], v[70:71], v[58:59] op_sel_hi:[1,0]
	s_nop 0
	v_pk_fma_f32 v[84:85], v[70:71], v[54:55], v[58:59] op_sel:[0,0,1] op_sel_hi:[1,1,0] neg_lo:[0,0,1] neg_hi:[0,0,1]
	v_pk_fma_f32 v[58:59], v[70:71], v[54:55], v[58:59] op_sel:[0,0,1] op_sel_hi:[1,0,0]
	s_nop 0
	v_mov_b32_e32 v85, v59
	v_pk_add_f32 v[58:59], v[82:83], v[84:85]
	v_pk_add_f32 v[70:71], v[82:83], v[84:85] neg_lo:[0,1] neg_hi:[0,1]
	v_pk_fma_f32 v[58:59], v[58:59], 0.5, v[66:67] op_sel_hi:[1,0,1] neg_lo:[1,0,0] neg_hi:[1,0,0]
	v_pk_mul_f32 v[70:71], v[70:71], s[8:9] op_sel_hi:[1,0]
	s_nop 0
	v_pk_add_f32 v[86:87], v[58:59], v[70:71] op_sel:[0,1] op_sel_hi:[1,0] neg_lo:[0,1] neg_hi:[0,1]
	v_pk_add_f32 v[88:89], v[58:59], v[70:71] op_sel:[0,1] op_sel_hi:[1,0]
	s_waitcnt vmcnt(4)
	v_pk_mul_f32 v[58:59], v[56:57], v[48:49] op_sel:[0,1]
	s_nop 0
	v_pk_fma_f32 v[90:91], v[56:57], v[48:49], v[58:59] op_sel:[0,0,1] op_sel_hi:[1,1,0] neg_lo:[0,0,1] neg_hi:[0,0,1]
	v_pk_fma_f32 v[56:57], v[56:57], v[48:49], v[58:59] op_sel:[0,0,1] op_sel_hi:[1,0,0]
	s_nop 0
	v_mov_b32_e32 v56, v51
	v_mov_b32_e32 v91, v57
	v_pk_mul_f32 v[56:57], v[68:69], v[56:57] op_sel_hi:[1,0]
	s_nop 0
	v_pk_fma_f32 v[92:93], v[68:69], v[50:51], v[56:57] op_sel:[0,0,1] op_sel_hi:[1,1,0] neg_lo:[0,0,1] neg_hi:[0,0,1]
	v_pk_fma_f32 v[56:57], v[68:69], v[50:51], v[56:57] op_sel:[0,0,1] op_sel_hi:[1,0,0]
	s_nop 0
	v_mov_b32_e32 v93, v57
	v_pk_add_f32 v[56:57], v[90:91], v[92:93]
	s_nop 0
	v_pk_fma_f32 v[68:69], v[56:57], 0.5, v[64:65] op_sel_hi:[1,0,1] neg_lo:[1,0,0] neg_hi:[1,0,0]
	v_pk_add_f32 v[56:57], v[90:91], v[92:93] neg_lo:[0,1] neg_hi:[0,1]
	s_nop 0
	v_pk_mul_f32 v[70:71], v[56:57], s[8:9] op_sel_hi:[1,0]
	ds_read2_b64 v[56:59], v1 offset0:24 offset1:123
	v_pk_add_f32 v[94:95], v[68:69], v[70:71] op_sel:[0,1] op_sel_hi:[1,0] neg_lo:[0,1] neg_hi:[0,1]
	v_pk_add_f32 v[96:97], v[68:69], v[70:71] op_sel:[0,1] op_sel_hi:[1,0]
	ds_read2_b64 v[68:71], v100 offset0:70 offset1:169
	ds_read2_b64 v[72:75], v116 offset0:106 offset1:205
	s_waitcnt vmcnt(3) lgkmcnt(2)
	v_pk_mul_f32 v[78:79], v[58:59], v[44:45] op_sel:[0,1]
	s_nop 0
	v_pk_fma_f32 v[98:99], v[58:59], v[44:45], v[78:79] op_sel:[0,0,1] op_sel_hi:[1,1,0] neg_lo:[0,0,1] neg_hi:[0,0,1]
	v_pk_fma_f32 v[58:59], v[58:59], v[44:45], v[78:79] op_sel:[0,0,1] op_sel_hi:[1,0,0]
	s_nop 0
	v_mov_b32_e32 v58, v47
	v_mov_b32_e32 v99, v59
	s_waitcnt lgkmcnt(0)
	v_pk_mul_f32 v[58:59], v[74:75], v[58:59] op_sel_hi:[1,0]
	s_nop 0
	v_pk_fma_f32 v[104:105], v[74:75], v[46:47], v[58:59] op_sel:[0,0,1] op_sel_hi:[1,1,0] neg_lo:[0,0,1] neg_hi:[0,0,1]
	v_pk_fma_f32 v[58:59], v[74:75], v[46:47], v[58:59] op_sel:[0,0,1] op_sel_hi:[1,0,0]
	s_nop 0
	v_mov_b32_e32 v105, v59
	v_pk_add_f32 v[58:59], v[98:99], v[104:105]
	v_pk_add_f32 v[74:75], v[98:99], v[104:105] neg_lo:[0,1] neg_hi:[0,1]
	v_pk_fma_f32 v[58:59], v[58:59], 0.5, v[70:71] op_sel_hi:[1,0,1] neg_lo:[1,0,0] neg_hi:[1,0,0]
	v_pk_mul_f32 v[74:75], v[74:75], s[8:9] op_sel_hi:[1,0]
	s_nop 0
	v_pk_add_f32 v[106:107], v[58:59], v[74:75] op_sel:[0,1] op_sel_hi:[1,0] neg_lo:[0,1] neg_hi:[0,1]
	v_pk_add_f32 v[108:109], v[58:59], v[74:75] op_sel:[0,1] op_sel_hi:[1,0]
	s_waitcnt vmcnt(2)
	v_pk_mul_f32 v[58:59], v[56:57], v[40:41] op_sel:[0,1]
	s_nop 0
	v_pk_fma_f32 v[110:111], v[56:57], v[40:41], v[58:59] op_sel:[0,0,1] op_sel_hi:[1,1,0] neg_lo:[0,0,1] neg_hi:[0,0,1]
	v_pk_fma_f32 v[56:57], v[56:57], v[40:41], v[58:59] op_sel:[0,0,1] op_sel_hi:[1,0,0]
	s_nop 0
	v_mov_b32_e32 v56, v43
	v_mov_b32_e32 v111, v57
	v_pk_mul_f32 v[56:57], v[72:73], v[56:57] op_sel_hi:[1,0]
	s_nop 0
	v_pk_fma_f32 v[112:113], v[72:73], v[42:43], v[56:57] op_sel:[0,0,1] op_sel_hi:[1,1,0] neg_lo:[0,0,1] neg_hi:[0,0,1]
	v_pk_fma_f32 v[56:57], v[72:73], v[42:43], v[56:57] op_sel:[0,0,1] op_sel_hi:[1,0,0]
	s_nop 0
	v_mov_b32_e32 v113, v57
	v_pk_add_f32 v[56:57], v[110:111], v[112:113]
	s_nop 0
	v_pk_fma_f32 v[72:73], v[56:57], 0.5, v[68:69] op_sel_hi:[1,0,1] neg_lo:[1,0,0] neg_hi:[1,0,0]
	v_pk_add_f32 v[56:57], v[110:111], v[112:113] neg_lo:[0,1] neg_hi:[0,1]
	s_nop 0
	v_pk_mul_f32 v[74:75], v[56:57], s[8:9] op_sel_hi:[1,0]
	ds_read2_b64 v[56:59], v101 offset0:82 offset1:181
	v_pk_add_f32 v[114:115], v[72:73], v[74:75] op_sel:[0,1] op_sel_hi:[1,0] neg_lo:[0,1] neg_hi:[0,1]
	v_pk_add_f32 v[118:119], v[72:73], v[74:75] op_sel:[0,1] op_sel_hi:[1,0]
	ds_read2_b64 v[72:75], v120 offset1:99
	ds_read2_b64 v[78:81], v102 offset0:36 offset1:135
	s_waitcnt vmcnt(0) lgkmcnt(0)
	v_pk_mul_f32 v[122:123], v[58:59], v[36:37] op_sel:[0,1]
	s_barrier
	v_pk_fma_f32 v[124:125], v[58:59], v[36:37], v[122:123] op_sel:[0,0,1] op_sel_hi:[1,1,0] neg_lo:[0,0,1] neg_hi:[0,0,1]
	v_pk_fma_f32 v[58:59], v[58:59], v[36:37], v[122:123] op_sel:[0,0,1] op_sel_hi:[1,0,0]
	s_nop 0
	v_mov_b32_e32 v58, v39
	v_mov_b32_e32 v125, v59
	v_pk_mul_f32 v[58:59], v[80:81], v[58:59] op_sel_hi:[1,0]
	s_nop 0
	v_pk_fma_f32 v[122:123], v[80:81], v[38:39], v[58:59] op_sel:[0,0,1] op_sel_hi:[1,1,0] neg_lo:[0,0,1] neg_hi:[0,0,1]
	v_pk_fma_f32 v[58:59], v[80:81], v[38:39], v[58:59] op_sel:[0,0,1] op_sel_hi:[1,0,0]
	v_pk_mul_f32 v[80:81], v[56:57], v[32:33] op_sel:[0,1]
	v_mov_b32_e32 v123, v59
	v_pk_fma_f32 v[126:127], v[56:57], v[32:33], v[80:81] op_sel:[0,0,1] op_sel_hi:[1,1,0] neg_lo:[0,0,1] neg_hi:[0,0,1]
	v_pk_fma_f32 v[56:57], v[56:57], v[32:33], v[80:81] op_sel:[0,0,1] op_sel_hi:[1,0,0]
	v_pk_add_f32 v[58:59], v[74:75], v[124:125]
	v_mov_b32_e32 v56, v35
	v_mov_b32_e32 v127, v57
	v_pk_mul_f32 v[56:57], v[78:79], v[56:57] op_sel_hi:[1,0]
	v_pk_add_f32 v[58:59], v[58:59], v[122:123]
	v_pk_fma_f32 v[80:81], v[78:79], v[34:35], v[56:57] op_sel:[0,0,1] op_sel_hi:[1,1,0] neg_lo:[0,0,1] neg_hi:[0,0,1]
	v_pk_fma_f32 v[56:57], v[78:79], v[34:35], v[56:57] op_sel:[0,0,1] op_sel_hi:[1,0,0]
	s_nop 0
	v_mov_b32_e32 v81, v57
	v_pk_add_f32 v[78:79], v[126:127], v[80:81]
	v_pk_add_f32 v[56:57], v[72:73], v[126:127]
	v_pk_fma_f32 v[72:73], v[78:79], 0.5, v[72:73] op_sel_hi:[1,0,1] neg_lo:[1,0,0] neg_hi:[1,0,0]
	v_pk_add_f32 v[78:79], v[126:127], v[80:81] neg_lo:[0,1] neg_hi:[0,1]
	v_pk_add_f32 v[56:57], v[56:57], v[80:81]
	v_pk_mul_f32 v[78:79], v[78:79], s[8:9] op_sel_hi:[1,0]
	s_nop 0
	v_pk_add_f32 v[80:81], v[72:73], v[78:79] op_sel:[0,1] op_sel_hi:[1,0]
	v_pk_add_f32 v[72:73], v[72:73], v[78:79] op_sel:[0,1] op_sel_hi:[1,0] neg_lo:[0,1] neg_hi:[0,1]
	v_mov_b32_e32 v78, v80
	v_mov_b32_e32 v79, v73
	;; [unrolled: 1-line block ×3, first 2 shown]
	ds_write2_b64 v128, v[56:57], v[78:79] offset1:33
	ds_write_b64 v128, v[72:73] offset:528
	v_pk_add_f32 v[56:57], v[124:125], v[122:123]
	v_pk_add_f32 v[72:73], v[124:125], v[122:123] neg_lo:[0,1] neg_hi:[0,1]
	v_pk_fma_f32 v[56:57], v[56:57], 0.5, v[74:75] op_sel_hi:[1,0,1] neg_lo:[1,0,0] neg_hi:[1,0,0]
	v_pk_mul_f32 v[72:73], v[72:73], s[8:9] op_sel_hi:[1,0]
	s_mov_b32 s9, 0xa57f
	v_pk_add_f32 v[74:75], v[56:57], v[72:73] op_sel:[0,1] op_sel_hi:[1,0]
	v_pk_add_f32 v[56:57], v[56:57], v[72:73] op_sel:[0,1] op_sel_hi:[1,0] neg_lo:[0,1] neg_hi:[0,1]
	v_mov_b32_e32 v72, v74
	v_mov_b32_e32 v73, v57
	;; [unrolled: 1-line block ×3, first 2 shown]
	ds_write_b64 v117, v[56:57] offset:528
	v_pk_add_f32 v[56:57], v[68:69], v[110:111]
	ds_write2_b64 v117, v[58:59], v[72:73] offset1:33
	v_pk_add_f32 v[56:57], v[56:57], v[112:113]
	v_mov_b32_e32 v58, v118
	v_mov_b32_e32 v59, v115
	ds_write2_b64 v103, v[56:57], v[58:59] offset1:33
	v_pk_add_f32 v[56:57], v[70:71], v[98:99]
	v_mov_b32_e32 v115, v119
	v_pk_add_f32 v[56:57], v[56:57], v[104:105]
	v_mov_b32_e32 v58, v108
	v_mov_b32_e32 v59, v107
	ds_write_b64 v103, v[114:115] offset:528
	ds_write2_b64 v77, v[56:57], v[58:59] offset1:33
	v_pk_add_f32 v[56:57], v[64:65], v[90:91]
	v_mov_b32_e32 v107, v109
	v_pk_add_f32 v[56:57], v[56:57], v[92:93]
	v_mov_b32_e32 v58, v96
	v_mov_b32_e32 v59, v95
	ds_write_b64 v77, v[106:107] offset:528
	ds_write2_b64 v63, v[56:57], v[58:59] offset1:33
	v_pk_add_f32 v[56:57], v[66:67], v[82:83]
	v_mov_b32_e32 v95, v97
	v_pk_add_f32 v[56:57], v[56:57], v[84:85]
	v_mov_b32_e32 v58, v88
	v_mov_b32_e32 v59, v87
	;; [unrolled: 1-line block ×3, first 2 shown]
	ds_write_b64 v63, v[94:95] offset:528
	ds_write2_b64 v30, v[56:57], v[58:59] offset1:33
	ds_write_b64 v30, v[86:87] offset:528
	v_lshlrev_b32_e32 v30, 4, v172
	s_waitcnt lgkmcnt(0)
	s_barrier
	global_load_dwordx4 v[56:59], v30, s[0:1] offset:704
	v_mul_u32_u24_sdwa v31, v60, s9 dst_sel:DWORD dst_unused:UNUSED_PAD src0_sel:WORD_0 src1_sel:DWORD
	v_lshrrev_b32_e32 v31, 22, v31
	v_mul_lo_u16_e32 v31, 0x63, v31
	v_sub_u16_e32 v31, v60, v31
	v_lshlrev_b16_e32 v64, 4, v31
	v_mov_b32_e32 v65, v29
	v_lshl_add_u64 v[64:65], s[0:1], 0, v[64:65]
	global_load_dwordx4 v[72:75], v[64:65], off offset:704
	v_mul_u32_u24_sdwa v60, v61, s9 dst_sel:DWORD dst_unused:UNUSED_PAD src0_sel:WORD_0 src1_sel:DWORD
	v_lshrrev_b32_e32 v60, 22, v60
	v_mul_lo_u16_e32 v60, 0x63, v60
	v_sub_u16_e32 v77, v61, v60
	v_lshlrev_b16_e32 v60, 4, v77
	v_mov_b32_e32 v61, v29
	v_lshl_add_u64 v[60:61], s[0:1], 0, v[60:61]
	global_load_dwordx4 v[68:71], v[60:61], off offset:704
	;; [unrolled: 8-line block ×4, first 2 shown]
	ds_read2_b64 v[78:81], v101 offset0:82 offset1:181
	ds_read2_b64 v[82:85], v120 offset1:99
	ds_read2_b64 v[86:89], v102 offset0:36 offset1:135
	v_lshlrev_b32_e32 v144, 3, v97
	v_lshlrev_b32_e32 v117, 3, v96
	;; [unrolled: 1-line block ×4, first 2 shown]
	v_add_u32_e32 v31, 0x1000, v144
	v_accvgpr_write_b32 a42, v77
	v_accvgpr_write_b32 a45, v144
	;; [unrolled: 1-line block ×4, first 2 shown]
	s_waitcnt vmcnt(4) lgkmcnt(2)
	v_pk_mul_f32 v[90:91], v[78:79], v[56:57] op_sel:[0,1]
	s_nop 0
	v_pk_fma_f32 v[92:93], v[78:79], v[56:57], v[90:91] op_sel:[0,0,1] op_sel_hi:[1,1,0] neg_lo:[0,0,1] neg_hi:[0,0,1]
	v_pk_fma_f32 v[78:79], v[78:79], v[56:57], v[90:91] op_sel:[0,0,1] op_sel_hi:[1,0,0]
	s_nop 0
	v_mov_b32_e32 v78, v59
	s_waitcnt lgkmcnt(0)
	v_pk_mul_f32 v[90:91], v[86:87], v[78:79] op_sel_hi:[1,0]
	v_mov_b32_e32 v93, v79
	v_pk_fma_f32 v[94:95], v[86:87], v[58:59], v[90:91] op_sel:[0,0,1] op_sel_hi:[1,1,0] neg_lo:[0,0,1] neg_hi:[0,0,1]
	v_pk_fma_f32 v[86:87], v[86:87], v[58:59], v[90:91] op_sel:[0,0,1] op_sel_hi:[1,0,0]
	v_pk_mul_f32 v[78:79], v[88:89], v[78:79] op_sel_hi:[1,0]
	v_mov_b32_e32 v95, v87
	v_pk_add_f32 v[86:87], v[92:93], v[94:95]
	v_pk_add_f32 v[90:91], v[92:93], v[94:95] neg_lo:[0,1] neg_hi:[0,1]
	v_pk_fma_f32 v[86:87], v[86:87], 0.5, v[82:83] op_sel_hi:[1,0,1] neg_lo:[1,0,0] neg_hi:[1,0,0]
	v_pk_mul_f32 v[90:91], v[90:91], s[8:9] op_sel_hi:[1,0]
	v_pk_fma_f32 v[108:109], v[88:89], v[58:59], v[78:79] op_sel:[0,0,1] op_sel_hi:[1,1,0] neg_lo:[0,0,1] neg_hi:[0,0,1]
	v_pk_add_f32 v[98:99], v[86:87], v[90:91] op_sel:[0,1] op_sel_hi:[1,0]
	v_pk_add_f32 v[104:105], v[86:87], v[90:91] op_sel:[0,1] op_sel_hi:[1,0] neg_lo:[0,1] neg_hi:[0,1]
	v_pk_mul_f32 v[86:87], v[80:81], v[56:57] op_sel:[0,1]
	v_pk_fma_f32 v[78:79], v[88:89], v[58:59], v[78:79] op_sel:[0,0,1] op_sel_hi:[1,0,0]
	v_pk_fma_f32 v[106:107], v[80:81], v[56:57], v[86:87] op_sel:[0,0,1] op_sel_hi:[1,1,0] neg_lo:[0,0,1] neg_hi:[0,0,1]
	v_pk_fma_f32 v[80:81], v[80:81], v[56:57], v[86:87] op_sel:[0,0,1] op_sel_hi:[1,0,0]
	v_mov_b32_e32 v109, v79
	v_mov_b32_e32 v107, v81
	v_pk_add_f32 v[78:79], v[106:107], v[108:109]
	v_pk_add_f32 v[80:81], v[106:107], v[108:109] neg_lo:[0,1] neg_hi:[0,1]
	v_pk_fma_f32 v[78:79], v[78:79], 0.5, v[84:85] op_sel_hi:[1,0,1] neg_lo:[1,0,0] neg_hi:[1,0,0]
	v_pk_mul_f32 v[80:81], v[80:81], s[8:9] op_sel_hi:[1,0]
	v_pk_add_f32 v[82:83], v[82:83], v[92:93]
	v_pk_add_f32 v[110:111], v[78:79], v[80:81] op_sel:[0,1] op_sel_hi:[1,0] neg_lo:[0,1] neg_hi:[0,1]
	v_pk_add_f32 v[112:113], v[78:79], v[80:81] op_sel:[0,1] op_sel_hi:[1,0]
	ds_read2_b64 v[78:81], v3 offset0:94 offset1:193
	ds_read2_b64 v[86:89], v2 offset0:140 offset1:239
	ds_read2_b64 v[90:93], v0 offset0:48 offset1:147
	v_pk_add_f32 v[82:83], v[82:83], v[94:95]
	s_waitcnt vmcnt(3) lgkmcnt(2)
	v_pk_mul_f32 v[94:95], v[80:81], v[72:73] op_sel:[0,1]
	s_nop 0
	v_pk_fma_f32 v[114:115], v[80:81], v[72:73], v[94:95] op_sel:[0,0,1] op_sel_hi:[1,1,0] neg_lo:[0,0,1] neg_hi:[0,0,1]
	v_pk_fma_f32 v[80:81], v[80:81], v[72:73], v[94:95] op_sel:[0,0,1] op_sel_hi:[1,0,0]
	s_nop 0
	v_mov_b32_e32 v80, v75
	v_mov_b32_e32 v115, v81
	s_waitcnt lgkmcnt(0)
	v_pk_mul_f32 v[80:81], v[92:93], v[80:81] op_sel_hi:[1,0]
	s_nop 0
	v_pk_fma_f32 v[118:119], v[92:93], v[74:75], v[80:81] op_sel:[0,0,1] op_sel_hi:[1,1,0] neg_lo:[0,0,1] neg_hi:[0,0,1]
	v_pk_fma_f32 v[80:81], v[92:93], v[74:75], v[80:81] op_sel:[0,0,1] op_sel_hi:[1,0,0]
	s_nop 0
	v_mov_b32_e32 v119, v81
	v_pk_add_f32 v[80:81], v[114:115], v[118:119]
	v_pk_add_f32 v[92:93], v[114:115], v[118:119] neg_lo:[0,1] neg_hi:[0,1]
	v_pk_fma_f32 v[80:81], v[80:81], 0.5, v[88:89] op_sel_hi:[1,0,1] neg_lo:[1,0,0] neg_hi:[1,0,0]
	v_pk_mul_f32 v[92:93], v[92:93], s[8:9] op_sel_hi:[1,0]
	s_nop 0
	v_pk_add_f32 v[122:123], v[80:81], v[92:93] op_sel:[0,1] op_sel_hi:[1,0] neg_lo:[0,1] neg_hi:[0,1]
	v_pk_add_f32 v[124:125], v[80:81], v[92:93] op_sel:[0,1] op_sel_hi:[1,0]
	s_waitcnt vmcnt(2)
	v_pk_mul_f32 v[80:81], v[78:79], v[68:69] op_sel:[0,1]
	s_nop 0
	v_pk_fma_f32 v[126:127], v[78:79], v[68:69], v[80:81] op_sel:[0,0,1] op_sel_hi:[1,1,0] neg_lo:[0,0,1] neg_hi:[0,0,1]
	v_pk_fma_f32 v[78:79], v[78:79], v[68:69], v[80:81] op_sel:[0,0,1] op_sel_hi:[1,0,0]
	s_nop 0
	v_mov_b32_e32 v78, v71
	v_mov_b32_e32 v127, v79
	v_pk_mul_f32 v[78:79], v[90:91], v[78:79] op_sel_hi:[1,0]
	s_nop 0
	v_pk_fma_f32 v[128:129], v[90:91], v[70:71], v[78:79] op_sel:[0,0,1] op_sel_hi:[1,1,0] neg_lo:[0,0,1] neg_hi:[0,0,1]
	v_pk_fma_f32 v[78:79], v[90:91], v[70:71], v[78:79] op_sel:[0,0,1] op_sel_hi:[1,0,0]
	s_nop 0
	v_mov_b32_e32 v129, v79
	v_pk_add_f32 v[78:79], v[126:127], v[128:129]
	s_nop 0
	v_pk_fma_f32 v[90:91], v[78:79], 0.5, v[86:87] op_sel_hi:[1,0,1] neg_lo:[1,0,0] neg_hi:[1,0,0]
	v_pk_add_f32 v[78:79], v[126:127], v[128:129] neg_lo:[0,1] neg_hi:[0,1]
	s_nop 0
	v_pk_mul_f32 v[92:93], v[78:79], s[8:9] op_sel_hi:[1,0]
	ds_read2_b64 v[78:81], v1 offset0:24 offset1:123
	v_pk_add_f32 v[130:131], v[90:91], v[92:93] op_sel:[0,1] op_sel_hi:[1,0] neg_lo:[0,1] neg_hi:[0,1]
	v_pk_add_f32 v[132:133], v[90:91], v[92:93] op_sel:[0,1] op_sel_hi:[1,0]
	ds_read2_b64 v[90:93], v100 offset0:70 offset1:169
	ds_read2_b64 v[94:97], v116 offset0:106 offset1:205
	s_waitcnt vmcnt(1) lgkmcnt(0)
	v_pk_mul_f32 v[134:135], v[80:81], v[64:65] op_sel:[0,1]
	s_barrier
	v_pk_fma_f32 v[136:137], v[80:81], v[64:65], v[134:135] op_sel:[0,0,1] op_sel_hi:[1,1,0] neg_lo:[0,0,1] neg_hi:[0,0,1]
	v_pk_fma_f32 v[80:81], v[80:81], v[64:65], v[134:135] op_sel:[0,0,1] op_sel_hi:[1,0,0]
	s_nop 0
	v_mov_b32_e32 v80, v67
	v_mov_b32_e32 v137, v81
	v_pk_mul_f32 v[80:81], v[96:97], v[80:81] op_sel_hi:[1,0]
	s_nop 0
	v_pk_fma_f32 v[134:135], v[96:97], v[66:67], v[80:81] op_sel:[0,0,1] op_sel_hi:[1,1,0] neg_lo:[0,0,1] neg_hi:[0,0,1]
	v_pk_fma_f32 v[80:81], v[96:97], v[66:67], v[80:81] op_sel:[0,0,1] op_sel_hi:[1,0,0]
	s_nop 0
	v_mov_b32_e32 v135, v81
	v_pk_add_f32 v[80:81], v[136:137], v[134:135]
	v_pk_add_f32 v[96:97], v[136:137], v[134:135] neg_lo:[0,1] neg_hi:[0,1]
	v_pk_fma_f32 v[80:81], v[80:81], 0.5, v[92:93] op_sel_hi:[1,0,1] neg_lo:[1,0,0] neg_hi:[1,0,0]
	v_pk_mul_f32 v[96:97], v[96:97], s[8:9] op_sel_hi:[1,0]
	s_nop 0
	v_pk_add_f32 v[138:139], v[80:81], v[96:97] op_sel:[0,1] op_sel_hi:[1,0] neg_lo:[0,1] neg_hi:[0,1]
	v_pk_add_f32 v[80:81], v[80:81], v[96:97] op_sel:[0,1] op_sel_hi:[1,0]
	s_waitcnt vmcnt(0)
	v_pk_mul_f32 v[96:97], v[78:79], v[60:61] op_sel:[0,1]
	s_nop 0
	v_pk_fma_f32 v[140:141], v[78:79], v[60:61], v[96:97] op_sel:[0,0,1] op_sel_hi:[1,1,0] neg_lo:[0,0,1] neg_hi:[0,0,1]
	v_pk_fma_f32 v[78:79], v[78:79], v[60:61], v[96:97] op_sel:[0,0,1] op_sel_hi:[1,0,0]
	s_nop 0
	v_mov_b32_e32 v78, v63
	v_mov_b32_e32 v141, v79
	v_pk_mul_f32 v[78:79], v[94:95], v[78:79] op_sel_hi:[1,0]
	s_nop 0
	v_pk_fma_f32 v[96:97], v[94:95], v[62:63], v[78:79] op_sel:[0,0,1] op_sel_hi:[1,1,0] neg_lo:[0,0,1] neg_hi:[0,0,1]
	v_pk_fma_f32 v[78:79], v[94:95], v[62:63], v[78:79] op_sel:[0,0,1] op_sel_hi:[1,0,0]
	s_nop 0
	v_mov_b32_e32 v97, v79
	v_pk_add_f32 v[78:79], v[140:141], v[96:97]
	v_pk_add_f32 v[94:95], v[140:141], v[96:97] neg_lo:[0,1] neg_hi:[0,1]
	v_pk_fma_f32 v[78:79], v[78:79], 0.5, v[90:91] op_sel_hi:[1,0,1] neg_lo:[1,0,0] neg_hi:[1,0,0]
	v_pk_mul_f32 v[94:95], v[94:95], s[8:9] op_sel_hi:[1,0]
	s_nop 0
	v_pk_add_f32 v[142:143], v[78:79], v[94:95] op_sel:[0,1] op_sel_hi:[1,0] neg_lo:[0,1] neg_hi:[0,1]
	v_pk_add_f32 v[78:79], v[78:79], v[94:95] op_sel:[0,1] op_sel_hi:[1,0]
	v_mov_b32_e32 v94, v98
	v_mov_b32_e32 v95, v105
	ds_write2_b64 v120, v[82:83], v[94:95] offset1:99
	v_pk_add_f32 v[82:83], v[84:85], v[106:107]
	v_mov_b32_e32 v105, v99
	v_pk_add_f32 v[82:83], v[82:83], v[108:109]
	ds_write2_b64 v100, v[104:105], v[82:83] offset0:70 offset1:169
	v_mov_b32_e32 v82, v112
	v_mov_b32_e32 v83, v111
	;; [unrolled: 1-line block ×3, first 2 shown]
	ds_write2_b64 v2, v[82:83], v[110:111] offset0:140 offset1:239
	v_pk_add_f32 v[82:83], v[90:91], v[140:141]
	v_mov_b32_e32 v84, v78
	v_pk_add_f32 v[82:83], v[82:83], v[96:97]
	v_mov_b32_e32 v85, v143
	v_mov_b32_e32 v143, v79
	v_pk_add_f32 v[78:79], v[92:93], v[136:137]
	ds_write2_b64 v31, v[82:83], v[84:85] offset0:82 offset1:181
	v_pk_add_f32 v[78:79], v[78:79], v[134:135]
	v_mov_b32_e32 v82, v80
	v_mov_b32_e32 v83, v139
	v_add_u32_e32 v31, 0x1800, v117
	ds_write2_b64 v31, v[78:79], v[82:83] offset0:123 offset1:222
	v_pk_add_f32 v[78:79], v[86:87], v[126:127]
	v_mov_b32_e32 v139, v81
	v_pk_add_f32 v[78:79], v[78:79], v[128:129]
	v_mov_b32_e32 v80, v132
	v_mov_b32_e32 v81, v131
	v_add_u32_e32 v31, 0x2400, v103
	ds_write2_b64 v31, v[78:79], v[80:81] offset0:36 offset1:135
	v_pk_add_f32 v[78:79], v[88:89], v[114:115]
	v_mov_b32_e32 v131, v133
	v_pk_add_f32 v[78:79], v[78:79], v[118:119]
	v_mov_b32_e32 v80, v124
	v_mov_b32_e32 v81, v123
	v_add_u32_e32 v31, 0x2c00, v77
	v_mov_b32_e32 v123, v125
	ds_write_b64 v144, v[142:143] offset:6336
	ds_write_b64 v117, v[138:139] offset:8712
	;; [unrolled: 1-line block ×3, first 2 shown]
	ds_write2_b64 v31, v[78:79], v[80:81] offset0:77 offset1:176
	ds_write_b64 v77, v[122:123] offset:13464
	s_waitcnt lgkmcnt(0)
	s_barrier
	global_load_dwordx4 v[80:83], v28, s[0:1] offset:2288
	v_lshlrev_b32_e32 v28, 4, v76
	global_load_dwordx4 v[84:87], v28, s[0:1] offset:2288
	global_load_dwordx4 v[76:79], v30, s[0:1] offset:2288
	ds_read2_b64 v[88:91], v101 offset0:82 offset1:181
	ds_read2_b64 v[92:95], v120 offset1:99
	ds_read2_b64 v[96:99], v102 offset0:36 offset1:135
	v_lshlrev_b32_e32 v28, 3, v172
	s_waitcnt vmcnt(2) lgkmcnt(2)
	v_pk_mul_f32 v[104:105], v[90:91], v[80:81] op_sel:[0,1]
	s_nop 0
	v_pk_fma_f32 v[118:119], v[90:91], v[80:81], v[104:105] op_sel:[0,0,1] op_sel_hi:[1,1,0] neg_lo:[0,0,1] neg_hi:[0,0,1]
	v_pk_fma_f32 v[90:91], v[90:91], v[80:81], v[104:105] op_sel:[0,0,1] op_sel_hi:[1,0,0]
	ds_read2_b64 v[104:107], v1 offset0:24 offset1:123
	v_mov_b32_e32 v122, v83
	v_mov_b32_e32 v119, v91
	s_waitcnt lgkmcnt(1)
	v_pk_mul_f32 v[90:91], v[98:99], v[122:123] op_sel_hi:[1,0]
	ds_read2_b64 v[108:111], v100 offset0:70 offset1:169
	ds_read2_b64 v[112:115], v116 offset0:106 offset1:205
	v_pk_fma_f32 v[124:125], v[98:99], v[82:83], v[90:91] op_sel:[0,0,1] op_sel_hi:[1,1,0] neg_lo:[0,0,1] neg_hi:[0,0,1]
	v_pk_fma_f32 v[90:91], v[98:99], v[82:83], v[90:91] op_sel:[0,0,1] op_sel_hi:[1,0,0]
	s_waitcnt vmcnt(0)
	v_mov_b32_e32 v132, v79
	v_mov_b32_e32 v125, v91
	v_pk_add_f32 v[90:91], v[94:95], v[118:119]
	s_nop 0
	v_pk_add_f32 v[126:127], v[90:91], v[124:125]
	s_waitcnt lgkmcnt(2)
	v_pk_mul_f32 v[90:91], v[104:105], v[84:85] op_sel:[0,1]
	s_nop 0
	v_pk_fma_f32 v[98:99], v[104:105], v[84:85], v[90:91] op_sel:[0,0,1] op_sel_hi:[1,1,0] neg_lo:[0,0,1] neg_hi:[0,0,1]
	v_pk_fma_f32 v[90:91], v[104:105], v[84:85], v[90:91] op_sel:[0,0,1] op_sel_hi:[1,0,0]
	v_mov_b32_e32 v104, v87
	v_mov_b32_e32 v99, v91
	s_waitcnt lgkmcnt(0)
	v_pk_mul_f32 v[90:91], v[112:113], v[104:105] op_sel_hi:[1,0]
	s_nop 0
	v_pk_fma_f32 v[128:129], v[112:113], v[86:87], v[90:91] op_sel:[0,0,1] op_sel_hi:[1,1,0] neg_lo:[0,0,1] neg_hi:[0,0,1]
	v_pk_fma_f32 v[90:91], v[112:113], v[86:87], v[90:91] op_sel:[0,0,1] op_sel_hi:[1,0,0]
	s_nop 0
	v_mov_b32_e32 v129, v91
	v_pk_add_f32 v[90:91], v[108:109], v[98:99]
	s_nop 0
	v_pk_add_f32 v[112:113], v[90:91], v[128:129]
	v_pk_mul_f32 v[90:91], v[88:89], v[76:77] op_sel:[0,1]
	s_nop 0
	v_pk_fma_f32 v[130:131], v[88:89], v[76:77], v[90:91] op_sel:[0,0,1] op_sel_hi:[1,1,0] neg_lo:[0,0,1] neg_hi:[0,0,1]
	v_pk_fma_f32 v[88:89], v[88:89], v[76:77], v[90:91] op_sel:[0,0,1] op_sel_hi:[1,0,0]
	s_nop 0
	v_mov_b32_e32 v131, v89
	v_pk_mul_f32 v[88:89], v[96:97], v[132:133] op_sel_hi:[1,0]
	s_nop 0
	v_pk_fma_f32 v[90:91], v[96:97], v[78:79], v[88:89] op_sel:[0,0,1] op_sel_hi:[1,1,0] neg_lo:[0,0,1] neg_hi:[0,0,1]
	v_pk_fma_f32 v[88:89], v[96:97], v[78:79], v[88:89] op_sel:[0,0,1] op_sel_hi:[1,0,0]
	s_nop 0
	v_mov_b32_e32 v91, v89
	v_pk_add_f32 v[88:89], v[130:131], v[90:91]
	v_pk_add_f32 v[96:97], v[130:131], v[90:91] neg_lo:[0,1] neg_hi:[0,1]
	v_pk_fma_f32 v[88:89], v[88:89], 0.5, v[92:93] op_sel_hi:[1,0,1] neg_lo:[1,0,0] neg_hi:[1,0,0]
	v_pk_mul_f32 v[96:97], v[96:97], s[8:9] op_sel_hi:[1,0]
	s_nop 0
	v_pk_add_f32 v[134:135], v[88:89], v[96:97] op_sel:[0,1] op_sel_hi:[1,0]
	v_pk_add_f32 v[136:137], v[88:89], v[96:97] op_sel:[0,1] op_sel_hi:[1,0] neg_lo:[0,1] neg_hi:[0,1]
	v_pk_add_f32 v[88:89], v[92:93], v[130:131]
	s_nop 0
	v_pk_add_f32 v[130:131], v[88:89], v[90:91]
	v_pk_add_f32 v[88:89], v[118:119], v[124:125]
	v_pk_add_f32 v[90:91], v[118:119], v[124:125] neg_lo:[0,1] neg_hi:[0,1]
	v_pk_fma_f32 v[88:89], v[88:89], 0.5, v[94:95] op_sel_hi:[1,0,1] neg_lo:[1,0,0] neg_hi:[1,0,0]
	v_pk_mul_f32 v[90:91], v[90:91], s[8:9] op_sel_hi:[1,0]
	s_nop 0
	v_pk_add_f32 v[118:119], v[88:89], v[90:91] op_sel:[0,1] op_sel_hi:[1,0]
	v_pk_add_f32 v[124:125], v[88:89], v[90:91] op_sel:[0,1] op_sel_hi:[1,0] neg_lo:[0,1] neg_hi:[0,1]
	v_pk_add_f32 v[88:89], v[98:99], v[128:129]
	s_nop 0
	v_pk_fma_f32 v[92:93], v[88:89], 0.5, v[108:109] op_sel_hi:[1,0,1] neg_lo:[1,0,0] neg_hi:[1,0,0]
	v_pk_add_f32 v[88:89], v[98:99], v[128:129] neg_lo:[0,1] neg_hi:[0,1]
	s_nop 0
	v_pk_mul_f32 v[94:95], v[88:89], s[8:9] op_sel_hi:[1,0]
	ds_read2_b64 v[88:91], v3 offset0:94 offset1:193
	v_pk_add_f32 v[108:109], v[92:93], v[94:95] op_sel:[0,1] op_sel_hi:[1,0]
	v_pk_add_f32 v[128:129], v[92:93], v[94:95] op_sel:[0,1] op_sel_hi:[1,0] neg_lo:[0,1] neg_hi:[0,1]
	ds_read2_b64 v[92:95], v2 offset0:140 offset1:239
	ds_read2_b64 v[96:99], v0 offset0:48 offset1:147
	s_waitcnt lgkmcnt(0)
	v_pk_mul_f32 v[138:139], v[90:91], v[84:85] op_sel:[0,1]
	s_barrier
	v_pk_fma_f32 v[140:141], v[90:91], v[84:85], v[138:139] op_sel:[0,0,1] op_sel_hi:[1,1,0] neg_lo:[0,0,1] neg_hi:[0,0,1]
	v_pk_fma_f32 v[90:91], v[90:91], v[84:85], v[138:139] op_sel:[0,0,1] op_sel_hi:[1,0,0]
	s_nop 0
	v_mov_b32_e32 v141, v91
	v_pk_mul_f32 v[90:91], v[98:99], v[104:105] op_sel_hi:[1,0]
	ds_write2_b64 v120, v[130:131], v[126:127] offset1:99
	v_pk_fma_f32 v[104:105], v[98:99], v[86:87], v[90:91] op_sel:[0,0,1] op_sel_hi:[1,1,0] neg_lo:[0,0,1] neg_hi:[0,0,1]
	v_pk_fma_f32 v[90:91], v[98:99], v[86:87], v[90:91] op_sel:[0,0,1] op_sel_hi:[1,0,0]
	v_mov_b32_e32 v127, v125
	v_mov_b32_e32 v105, v91
	v_pk_add_f32 v[90:91], v[140:141], v[104:105]
	v_pk_add_f32 v[98:99], v[140:141], v[104:105] neg_lo:[0,1] neg_hi:[0,1]
	v_pk_fma_f32 v[90:91], v[90:91], 0.5, v[94:95] op_sel_hi:[1,0,1] neg_lo:[1,0,0] neg_hi:[1,0,0]
	v_pk_mul_f32 v[98:99], v[98:99], s[8:9] op_sel_hi:[1,0]
	v_mov_b32_e32 v125, v119
	v_pk_add_f32 v[138:139], v[90:91], v[98:99] op_sel:[0,1] op_sel_hi:[1,0] neg_lo:[0,1] neg_hi:[0,1]
	v_pk_add_f32 v[90:91], v[90:91], v[98:99] op_sel:[0,1] op_sel_hi:[1,0]
	v_pk_mul_f32 v[98:99], v[88:89], v[80:81] op_sel:[0,1]
	v_mov_b32_e32 v126, v118
	v_pk_fma_f32 v[142:143], v[88:89], v[80:81], v[98:99] op_sel:[0,0,1] op_sel_hi:[1,1,0] neg_lo:[0,0,1] neg_hi:[0,0,1]
	v_pk_fma_f32 v[88:89], v[88:89], v[80:81], v[98:99] op_sel:[0,0,1] op_sel_hi:[1,0,0]
	v_lshl_add_u64 v[118:119], s[12:13], 0, v[28:29]
	v_mov_b32_e32 v143, v89
	v_pk_mul_f32 v[88:89], v[96:97], v[122:123] op_sel_hi:[1,0]
	s_nop 0
	v_pk_fma_f32 v[98:99], v[96:97], v[82:83], v[88:89] op_sel:[0,0,1] op_sel_hi:[1,1,0] neg_lo:[0,0,1] neg_hi:[0,0,1]
	v_pk_fma_f32 v[88:89], v[96:97], v[82:83], v[88:89] op_sel:[0,0,1] op_sel_hi:[1,0,0]
	s_nop 0
	v_mov_b32_e32 v99, v89
	v_pk_add_f32 v[88:89], v[142:143], v[98:99]
	v_pk_add_f32 v[96:97], v[142:143], v[98:99] neg_lo:[0,1] neg_hi:[0,1]
	v_pk_fma_f32 v[88:89], v[88:89], 0.5, v[92:93] op_sel_hi:[1,0,1] neg_lo:[1,0,0] neg_hi:[1,0,0]
	v_pk_mul_f32 v[96:97], v[96:97], s[8:9] op_sel_hi:[1,0]
	v_pk_add_f32 v[92:93], v[92:93], v[142:143]
	v_pk_add_f32 v[122:123], v[88:89], v[96:97] op_sel:[0,1] op_sel_hi:[1,0] neg_lo:[0,1] neg_hi:[0,1]
	v_pk_add_f32 v[88:89], v[88:89], v[96:97] op_sel:[0,1] op_sel_hi:[1,0]
	v_pk_mul_f32 v[96:97], v[106:107], v[76:77] op_sel:[0,1]
	v_pk_add_f32 v[92:93], v[92:93], v[98:99]
	v_pk_fma_f32 v[144:145], v[106:107], v[76:77], v[96:97] op_sel:[0,0,1] op_sel_hi:[1,1,0] neg_lo:[0,0,1] neg_hi:[0,0,1]
	v_pk_fma_f32 v[96:97], v[106:107], v[76:77], v[96:97] op_sel:[0,0,1] op_sel_hi:[1,0,0]
	s_nop 0
	v_mov_b32_e32 v145, v97
	v_pk_mul_f32 v[96:97], v[114:115], v[132:133] op_sel_hi:[1,0]
	s_nop 0
	v_pk_fma_f32 v[106:107], v[114:115], v[78:79], v[96:97] op_sel:[0,0,1] op_sel_hi:[1,1,0] neg_lo:[0,0,1] neg_hi:[0,0,1]
	v_pk_fma_f32 v[96:97], v[114:115], v[78:79], v[96:97] op_sel:[0,0,1] op_sel_hi:[1,0,0]
	s_nop 0
	v_mov_b32_e32 v107, v97
	v_pk_add_f32 v[96:97], v[144:145], v[106:107]
	v_pk_add_f32 v[114:115], v[144:145], v[106:107] neg_lo:[0,1] neg_hi:[0,1]
	v_pk_fma_f32 v[96:97], v[96:97], 0.5, v[110:111] op_sel_hi:[1,0,1] neg_lo:[1,0,0] neg_hi:[1,0,0]
	v_pk_mul_f32 v[114:115], v[114:115], s[8:9] op_sel_hi:[1,0]
	s_nop 0
	v_pk_add_f32 v[132:133], v[96:97], v[114:115] op_sel:[0,1] op_sel_hi:[1,0] neg_lo:[0,1] neg_hi:[0,1]
	v_pk_add_f32 v[96:97], v[96:97], v[114:115] op_sel:[0,1] op_sel_hi:[1,0]
	v_mov_b32_e32 v115, v137
	v_mov_b32_e32 v137, v135
	;; [unrolled: 1-line block ×3, first 2 shown]
	ds_write2_b64 v101, v[136:137], v[124:125] offset0:82 offset1:181
	ds_write2_b64 v100, v[112:113], v[114:115] offset0:70 offset1:169
	v_mov_b32_e32 v112, v108
	v_mov_b32_e32 v113, v129
	;; [unrolled: 1-line block ×3, first 2 shown]
	v_pk_add_f32 v[108:109], v[110:111], v[144:145]
	ds_write2_b64 v2, v[126:127], v[112:113] offset0:140 offset1:239
	v_pk_add_f32 v[106:107], v[108:109], v[106:107]
	ds_write2_b64 v1, v[128:129], v[106:107] offset0:24 offset1:123
	v_mov_b32_e32 v106, v96
	v_mov_b32_e32 v107, v133
	;; [unrolled: 1-line block ×6, first 2 shown]
	v_pk_add_f32 v[88:89], v[94:95], v[140:141]
	ds_write2_b64 v102, v[106:107], v[96:97] offset0:36 offset1:135
	v_pk_add_f32 v[88:89], v[88:89], v[104:105]
	ds_write2_b64 v3, v[92:93], v[88:89] offset0:94 offset1:193
	v_mov_b32_e32 v88, v90
	v_mov_b32_e32 v89, v139
	ds_write2_b64 v116, v[88:89], v[132:133] offset0:106 offset1:205
	v_lshl_add_u64 v[88:89], s[0:1], 0, v[28:29]
	v_add_co_u32_e64 v90, s[0:1], s11, v88
	v_mov_b32_e32 v139, v91
	s_nop 0
	v_addc_co_u32_e64 v91, s[0:1], 0, v89, s[0:1]
	ds_write2_b64 v0, v[122:123], v[138:139] offset0:48 offset1:147
	s_waitcnt lgkmcnt(0)
	s_barrier
	global_load_dwordx2 v[30:31], v[90:91], off offset:3600
	global_load_dwordx2 v[152:153], v[90:91], off offset:2808
	v_add_co_u32_e64 v92, s[0:1], s10, v88
	s_waitcnt vmcnt(1)
	v_mov_b32_e32 v28, v31
	v_addc_co_u32_e64 v93, s[0:1], 0, v89, s[0:1]
	global_load_dwordx2 v[122:123], v[92:93], off offset:296
	global_load_dwordx2 v[136:137], v[92:93], off offset:1088
	v_add_co_u32_e64 v88, s[0:1], s14, v88
	v_accvgpr_write_b32 a47, v31
	s_nop 0
	v_addc_co_u32_e64 v89, s[0:1], 0, v89, s[0:1]
	global_load_dwordx2 v[160:161], v[88:89], off offset:3736
	global_load_dwordx2 v[158:159], v[90:91], off offset:432
	;; [unrolled: 1-line block ×5, first 2 shown]
	ds_read2_b64 v[88:91], v116 offset0:106 offset1:205
	ds_read2_b64 v[92:95], v0 offset0:48 offset1:147
	;; [unrolled: 1-line block ×3, first 2 shown]
	v_accvgpr_write_b32 a46, v30
	s_waitcnt lgkmcnt(2)
	v_pk_mul_f32 v[28:29], v[90:91], v[28:29] op_sel:[1,0] op_sel_hi:[0,1]
	v_pk_fma_f32 v[28:29], v[90:91], v[30:31], v[28:29] neg_lo:[0,0,1] neg_hi:[0,0,1]
	v_pk_mul_f32 v[96:97], v[90:91], v[30:31] op_sel:[1,0] op_sel_hi:[0,1]
	v_mov_b32_e32 v29, v96
	s_waitcnt vmcnt(7)
	v_pk_mul_f32 v[96:97], v[88:89], v[152:153] op_sel:[0,1]
	v_pk_fma_f32 v[90:91], v[90:91], v[30:31], v[28:29] op_sel:[1,0,0] op_sel_hi:[0,1,1]
	v_pk_fma_f32 v[98:99], v[88:89], v[152:153], v[96:97] op_sel:[0,0,1] op_sel_hi:[1,1,0] neg_lo:[0,0,1] neg_hi:[0,0,1]
	v_pk_fma_f32 v[88:89], v[88:89], v[152:153], v[96:97] op_sel:[0,0,1] op_sel_hi:[1,0,0]
	v_mov_b32_e32 v29, v91
	v_mov_b32_e32 v99, v89
	s_waitcnt lgkmcnt(0)
	v_pk_add_f32 v[88:89], v[106:107], v[98:99] neg_lo:[0,1] neg_hi:[0,1]
	ds_read2_b64 v[96:99], v101 offset0:82 offset1:181
	ds_read2_b64 v[108:111], v1 offset0:24 offset1:123
	ds_read2_b64 v[128:131], v102 offset0:36 offset1:135
	s_waitcnt vmcnt(6)
	v_pk_mul_f32 v[112:113], v[92:93], v[122:123] op_sel:[0,1]
	s_nop 0
	v_pk_fma_f32 v[114:115], v[92:93], v[122:123], v[112:113] op_sel:[0,0,1] op_sel_hi:[1,1,0] neg_lo:[0,0,1] neg_hi:[0,0,1]
	v_pk_fma_f32 v[92:93], v[92:93], v[122:123], v[112:113] op_sel:[0,0,1] op_sel_hi:[1,0,0]
	v_accvgpr_write_b32 a48, v122
	v_mov_b32_e32 v115, v93
	s_waitcnt vmcnt(5)
	v_pk_mul_f32 v[92:93], v[94:95], v[136:137] op_sel:[0,1]
	v_accvgpr_write_b32 a49, v123
	v_pk_fma_f32 v[122:123], v[94:95], v[136:137], v[92:93] op_sel:[0,0,1] op_sel_hi:[1,1,0] neg_lo:[0,0,1] neg_hi:[0,0,1]
	v_pk_fma_f32 v[92:93], v[94:95], v[136:137], v[92:93] op_sel:[0,0,1] op_sel_hi:[1,0,0]
	s_nop 0
	v_mov_b32_e32 v123, v93
	s_waitcnt lgkmcnt(2)
	v_pk_add_f32 v[92:93], v[96:97], v[28:29] neg_lo:[0,1] neg_hi:[0,1]
	s_waitcnt lgkmcnt(1)
	v_pk_add_f32 v[144:145], v[108:109], v[122:123] neg_lo:[0,1] neg_hi:[0,1]
	v_pk_fma_f32 v[90:91], v[96:97], 2.0, v[92:93] op_sel_hi:[1,0,1] neg_lo:[0,0,1] neg_hi:[0,0,1]
	v_pk_add_f32 v[96:97], v[98:99], v[114:115] neg_lo:[0,1] neg_hi:[0,1]
	ds_read2_b64 v[112:115], v3 offset0:94 offset1:193
	ds_read2_b64 v[122:125], v120 offset1:99
	v_pk_fma_f32 v[94:95], v[98:99], 2.0, v[96:97] op_sel_hi:[1,0,1] neg_lo:[0,0,1] neg_hi:[0,0,1]
	v_pk_fma_f32 v[98:99], v[108:109], 2.0, v[144:145] op_sel_hi:[1,0,1] neg_lo:[0,0,1] neg_hi:[0,0,1]
	v_accvgpr_write_b32 a34, v144
	s_waitcnt vmcnt(4) lgkmcnt(1)
	v_pk_mul_f32 v[108:109], v[112:113], v[160:161] op_sel:[0,1]
	s_waitcnt vmcnt(3)
	v_pk_mul_f32 v[132:133], v[114:115], v[158:159] op_sel:[0,1]
	v_pk_fma_f32 v[126:127], v[112:113], v[160:161], v[108:109] op_sel:[0,0,1] op_sel_hi:[1,1,0] neg_lo:[0,0,1] neg_hi:[0,0,1]
	v_pk_fma_f32 v[108:109], v[112:113], v[160:161], v[108:109] op_sel:[0,0,1] op_sel_hi:[1,0,0]
	v_pk_fma_f32 v[134:135], v[114:115], v[158:159], v[132:133] op_sel:[0,0,1] op_sel_hi:[1,1,0] neg_lo:[0,0,1] neg_hi:[0,0,1]
	v_mov_b32_e32 v127, v109
	s_waitcnt lgkmcnt(0)
	v_pk_add_f32 v[108:109], v[124:125], v[126:127] neg_lo:[0,1] neg_hi:[0,1]
	v_pk_fma_f32 v[114:115], v[114:115], v[158:159], v[132:133] op_sel:[0,0,1] op_sel_hi:[1,0,0]
	v_pk_fma_f32 v[112:113], v[124:125], 2.0, v[108:109] op_sel_hi:[1,0,1] neg_lo:[0,0,1] neg_hi:[0,0,1]
	ds_read2_b64 v[124:127], v100 offset0:70 offset1:169
	v_mov_b32_e32 v135, v115
	s_waitcnt vmcnt(2)
	v_pk_mul_f32 v[132:133], v[128:129], v[156:157] op_sel:[0,1]
	v_accvgpr_write_b32 a35, v145
	v_accvgpr_write_b32 a36, v146
	s_waitcnt lgkmcnt(0)
	v_pk_add_f32 v[114:115], v[124:125], v[134:135] neg_lo:[0,1] neg_hi:[0,1]
	v_pk_fma_f32 v[134:135], v[128:129], v[156:157], v[132:133] op_sel:[0,0,1] op_sel_hi:[1,1,0] neg_lo:[0,0,1] neg_hi:[0,0,1]
	v_pk_fma_f32 v[128:129], v[128:129], v[156:157], v[132:133] op_sel:[0,0,1] op_sel_hi:[1,0,0]
	s_waitcnt vmcnt(1)
	v_pk_mul_f32 v[132:133], v[130:131], v[154:155] op_sel:[0,1]
	v_mov_b32_e32 v135, v129
	v_pk_add_f32 v[128:129], v[126:127], v[134:135] neg_lo:[0,1] neg_hi:[0,1]
	v_pk_fma_f32 v[134:135], v[130:131], v[154:155], v[132:133] op_sel:[0,0,1] op_sel_hi:[1,1,0] neg_lo:[0,0,1] neg_hi:[0,0,1]
	v_pk_fma_f32 v[130:131], v[130:131], v[154:155], v[132:133] op_sel:[0,0,1] op_sel_hi:[1,0,0]
	s_waitcnt vmcnt(0)
	v_pk_mul_f32 v[132:133], v[110:111], v[162:163] op_sel:[0,1]
	v_mov_b32_e32 v135, v131
	v_pk_add_f32 v[130:131], v[104:105], v[134:135] neg_lo:[0,1] neg_hi:[0,1]
	v_pk_fma_f32 v[134:135], v[110:111], v[162:163], v[132:133] op_sel:[0,0,1] op_sel_hi:[1,1,0] neg_lo:[0,0,1] neg_hi:[0,0,1]
	v_pk_fma_f32 v[110:111], v[110:111], v[162:163], v[132:133] op_sel:[0,0,1] op_sel_hi:[1,0,0]
	ds_write2_b64 v3, v[108:109], v[114:115] offset0:94 offset1:193
	v_mov_b32_e32 v135, v111
	v_pk_add_f32 v[110:111], v[122:123], v[134:135] neg_lo:[0,1] neg_hi:[0,1]
	v_pk_fma_f32 v[124:125], v[124:125], 2.0, v[114:115] op_sel_hi:[1,0,1] neg_lo:[0,0,1] neg_hi:[0,0,1]
	v_pk_fma_f32 v[108:109], v[122:123], 2.0, v[110:111] op_sel_hi:[1,0,1] neg_lo:[0,0,1] neg_hi:[0,0,1]
	;; [unrolled: 1-line block ×4, first 2 shown]
	ds_write2_b64 v120, v[108:109], v[112:113] offset1:99
	ds_write2_b64 v100, v[124:125], v[126:127] offset0:70 offset1:169
	ds_write2_b64 v102, v[128:129], v[130:131] offset0:36 offset1:135
	v_pk_fma_f32 v[102:103], v[106:107], 2.0, v[88:89] op_sel_hi:[1,0,1] neg_lo:[0,0,1] neg_hi:[0,0,1]
	ds_write2_b64 v2, v[104:105], v[102:103] offset0:140 offset1:239
	ds_write2_b64 v116, v[88:89], v[92:93] offset0:106 offset1:205
	;; [unrolled: 1-line block ×5, first 2 shown]
	v_add_co_u32_e64 v0, s[0:1], s10, v118
	s_waitcnt lgkmcnt(0)
	s_nop 0
	v_addc_co_u32_e64 v1, s[0:1], 0, v119, s[0:1]
	s_barrier
	global_load_dwordx2 v[104:105], v[0:1], off offset:1968
	s_mov_b64 s[0:1], 0x37b0
	v_lshl_add_u64 v[0:1], v[118:119], 0, s[0:1]
	global_load_dwordx2 v[106:107], v[0:1], off offset:1296
	global_load_dwordx2 v[108:109], v[0:1], off offset:2592
	;; [unrolled: 1-line block ×3, first 2 shown]
	s_movk_i32 s0, 0x4000
	v_add_co_u32_e64 v100, s[0:1], s0, v118
	v_accvgpr_write_b32 a37, v147
	s_nop 0
	v_addc_co_u32_e64 v101, s[0:1], 0, v119, s[0:1]
	global_load_dwordx2 v[112:113], v[100:101], off offset:3056
	s_movk_i32 s0, 0x5000
	v_add_co_u32_e64 v100, s[0:1], s0, v118
	s_nop 1
	v_addc_co_u32_e64 v101, s[0:1], 0, v119, s[0:1]
	global_load_dwordx2 v[114:115], v[100:101], off offset:256
	global_load_dwordx2 v[122:123], v[100:101], off offset:1552
	;; [unrolled: 1-line block ×3, first 2 shown]
	s_movk_i32 s0, 0x6000
	v_add_co_u32_e64 v100, s[0:1], s0, v118
	s_nop 1
	v_addc_co_u32_e64 v101, s[0:1], 0, v119, s[0:1]
	global_load_dwordx2 v[118:119], v[100:101], off offset:48
	global_load_dwordx2 v[126:127], v[100:101], off offset:1344
	;; [unrolled: 1-line block ×3, first 2 shown]
	ds_read2_b64 v[100:103], v120 offset1:162
	s_waitcnt vmcnt(10) lgkmcnt(0)
	v_mul_f32_e32 v28, v101, v105
	v_mul_f32_e32 v131, v100, v105
	v_fma_f32 v130, v100, v104, -v28
	v_fmac_f32_e32 v131, v101, v104
	s_waitcnt vmcnt(9)
	v_mul_f32_e32 v28, v103, v107
	v_mul_f32_e32 v101, v102, v107
	v_fma_f32 v100, v102, v106, -v28
	v_fmac_f32_e32 v101, v103, v106
	ds_write2_b64 v120, v[130:131], v[100:101] offset1:162
	ds_read2_b64 v[100:103], v2 offset0:68 offset1:230
	v_add_u32_e32 v104, 0x1400, v120
	s_waitcnt vmcnt(8) lgkmcnt(0)
	v_mul_f32_e32 v28, v101, v109
	v_mul_f32_e32 v131, v100, v109
	v_fma_f32 v130, v100, v108, -v28
	v_fmac_f32_e32 v131, v101, v108
	ds_read2_b64 v[106:109], v104 offset0:8 offset1:170
	s_waitcnt vmcnt(7)
	v_mul_f32_e32 v28, v103, v111
	v_mul_f32_e32 v101, v102, v111
	v_fma_f32 v100, v102, v110, -v28
	v_fmac_f32_e32 v101, v103, v110
	ds_write2_b64 v2, v[130:131], v[100:101] offset0:68 offset1:230
	ds_read2_b64 v[100:103], v3 offset0:76 offset1:238
	s_waitcnt vmcnt(6) lgkmcnt(2)
	v_mul_f32_e32 v28, v107, v113
	v_mul_f32_e32 v111, v106, v113
	v_fma_f32 v110, v106, v112, -v28
	v_fmac_f32_e32 v111, v107, v112
	s_waitcnt vmcnt(5)
	v_mul_f32_e32 v28, v109, v115
	v_mul_f32_e32 v107, v108, v115
	v_fma_f32 v106, v108, v114, -v28
	v_fmac_f32_e32 v107, v109, v114
	ds_write2_b64 v104, v[110:111], v[106:107] offset0:8 offset1:170
	ds_read2_b64 v[106:109], v116 offset0:16 offset1:178
	s_waitcnt vmcnt(4) lgkmcnt(2)
	v_mul_f32_e32 v28, v101, v123
	v_mul_f32_e32 v111, v100, v123
	v_fma_f32 v110, v100, v122, -v28
	v_fmac_f32_e32 v111, v101, v122
	s_waitcnt vmcnt(3)
	v_mul_f32_e32 v28, v103, v125
	v_mul_f32_e32 v101, v102, v125
	v_fma_f32 v100, v102, v124, -v28
	v_fmac_f32_e32 v101, v103, v124
	ds_read_b64 v[102:103], v120 offset:12960
	ds_write2_b64 v3, v[110:111], v[100:101] offset0:76 offset1:238
	s_waitcnt vmcnt(2) lgkmcnt(2)
	v_mul_f32_e32 v28, v107, v119
	v_mul_f32_e32 v101, v106, v119
	v_fma_f32 v100, v106, v118, -v28
	v_fmac_f32_e32 v101, v107, v118
	s_waitcnt vmcnt(1)
	v_mul_f32_e32 v28, v109, v127
	v_mul_f32_e32 v107, v108, v127
	v_fma_f32 v106, v108, v126, -v28
	v_fmac_f32_e32 v107, v109, v126
	ds_write2_b64 v116, v[100:101], v[106:107] offset0:16 offset1:178
	s_waitcnt vmcnt(0) lgkmcnt(2)
	v_mul_f32_e32 v28, v103, v129
	v_mul_f32_e32 v101, v102, v129
	v_fma_f32 v100, v102, v128, -v28
	v_fmac_f32_e32 v101, v103, v128
	ds_write_b64 v120, v[100:101] offset:12960
	s_and_saveexec_b64 s[8:9], vcc
	s_cbranch_execz .LBB0_9
; %bb.8:
	global_load_dwordx2 v[106:107], v[0:1], off offset:792
	global_load_dwordx2 v[108:109], v[0:1], off offset:2088
	v_add_co_u32_e64 v100, s[0:1], s14, v0
	v_mov_b64_e32 v[150:151], v[136:137]
	s_nop 0
	v_addc_co_u32_e64 v101, s[0:1], 0, v1, s[0:1]
	v_add_co_u32_e64 v102, s[0:1], s11, v0
	global_load_dwordx2 v[114:115], v[0:1], off offset:3384
	global_load_dwordx2 v[118:119], v[100:101], off offset:584
	global_load_dwordx2 v[126:127], v[100:101], off offset:1880
	v_addc_co_u32_e64 v103, s[0:1], 0, v1, s[0:1]
	v_add_co_u32_e64 v0, s[0:1], s10, v0
	global_load_dwordx2 v[128:129], v[100:101], off offset:3176
	global_load_dwordx2 v[130:131], v[102:103], off offset:376
	;; [unrolled: 1-line block ×4, first 2 shown]
	v_addc_co_u32_e64 v1, s[0:1], 0, v1, s[0:1]
	global_load_dwordx2 v[136:137], v[0:1], off offset:168
	s_nop 0
	global_load_dwordx2 v[0:1], v[0:1], off offset:1464
	v_add_u32_e32 v28, 0x200, v120
	ds_read2_b64 v[100:103], v28 offset0:35 offset1:197
	v_add_u32_e32 v29, 0xc00, v120
	v_add_u32_e32 v30, 0x1600, v120
	;; [unrolled: 1-line block ×4, first 2 shown]
	s_waitcnt vmcnt(10) lgkmcnt(0)
	v_mul_f32_e32 v110, v101, v107
	v_mul_f32_e32 v111, v100, v107
	s_waitcnt vmcnt(9)
	v_mul_f32_e32 v112, v103, v109
	v_mul_f32_e32 v107, v102, v109
	v_fma_f32 v110, v100, v106, -v110
	v_fmac_f32_e32 v111, v101, v106
	v_fma_f32 v106, v102, v108, -v112
	v_fmac_f32_e32 v107, v103, v108
	ds_write2_b64 v28, v[110:111], v[106:107] offset0:35 offset1:197
	ds_read2_b64 v[100:103], v29 offset0:39 offset1:201
	ds_read2_b64 v[106:109], v30 offset0:43 offset1:205
	ds_read2_b64 v[110:113], v31 offset0:47 offset1:209
	ds_read2_b64 v[122:125], v105 offset0:51 offset1:213
	ds_read_b64 v[138:139], v120 offset:13752
	s_waitcnt vmcnt(8) lgkmcnt(4)
	v_mul_f32_e32 v28, v101, v115
	v_mul_f32_e32 v141, v100, v115
	s_waitcnt vmcnt(7)
	v_mul_f32_e32 v117, v103, v119
	v_mul_f32_e32 v115, v102, v119
	s_waitcnt vmcnt(6) lgkmcnt(3)
	v_mul_f32_e32 v142, v107, v127
	v_mul_f32_e32 v119, v106, v127
	s_waitcnt vmcnt(5)
	v_mul_f32_e32 v143, v109, v129
	v_mul_f32_e32 v127, v108, v129
	;; [unrolled: 6-line block ×4, first 2 shown]
	s_waitcnt vmcnt(0) lgkmcnt(0)
	v_mul_f32_e32 v148, v139, v1
	v_mul_f32_e32 v137, v138, v1
	v_fma_f32 v140, v100, v114, -v28
	v_fmac_f32_e32 v141, v101, v114
	v_fma_f32 v114, v102, v118, -v117
	v_fmac_f32_e32 v115, v103, v118
	v_fma_f32 v118, v106, v126, -v142
	v_fmac_f32_e32 v119, v107, v126
	v_fma_f32 v126, v108, v128, -v143
	v_fmac_f32_e32 v127, v109, v128
	v_fma_f32 v128, v110, v130, -v144
	v_fmac_f32_e32 v129, v111, v130
	v_fma_f32 v130, v112, v132, -v145
	v_fmac_f32_e32 v131, v113, v132
	v_fma_f32 v132, v122, v134, -v146
	v_fmac_f32_e32 v133, v123, v134
	v_fma_f32 v134, v124, v136, -v147
	v_fmac_f32_e32 v135, v125, v136
	v_fma_f32 v136, v138, v0, -v148
	v_fmac_f32_e32 v137, v139, v0
	ds_write2_b64 v29, v[140:141], v[114:115] offset0:39 offset1:201
	ds_write2_b64 v30, v[118:119], v[126:127] offset0:43 offset1:205
	;; [unrolled: 1-line block ×4, first 2 shown]
	ds_write_b64 v120, v[136:137] offset:13752
	v_mov_b64_e32 v[136:137], v[150:151]
.LBB0_9:
	s_or_b64 exec, exec, s[8:9]
	s_waitcnt lgkmcnt(0)
	s_barrier
	ds_read2_b64 v[100:103], v120 offset1:162
	ds_read2_b64 v[112:115], v2 offset0:68 offset1:230
	ds_read2_b64 v[104:107], v104 offset0:8 offset1:170
	;; [unrolled: 1-line block ×4, first 2 shown]
	ds_read_b64 v[0:1], v120 offset:12960
	v_accvgpr_write_b32 a60, v162
	v_accvgpr_write_b32 a58, v160
	;; [unrolled: 1-line block ×12, first 2 shown]
	s_and_saveexec_b64 s[0:1], vcc
	s_cbranch_execz .LBB0_11
; %bb.10:
	v_add_u32_e32 v2, 0x200, v120
	ds_read2_b64 v[88:91], v2 offset0:35 offset1:197
	v_add_u32_e32 v2, 0xc00, v120
	ds_read2_b64 v[92:95], v2 offset0:39 offset1:201
	;; [unrolled: 2-line block ×5, first 2 shown]
	ds_read_b64 a[32:33], v120 offset:13752
.LBB0_11:
	s_or_b64 exec, exec, s[0:1]
	v_mov_b32_e32 v3, v44
	v_mov_b32_e32 v2, v44
	v_accvgpr_write_b32 a69, v3
	v_accvgpr_write_b32 a68, v2
	v_mov_b32_e32 v3, v40
	v_mov_b32_e32 v2, v40
	v_accvgpr_write_b32 a63, v3
	v_accvgpr_write_b32 a62, v2
	s_waitcnt lgkmcnt(5)
	v_pk_add_f32 v[2:3], v[100:101], v[102:103]
	s_waitcnt lgkmcnt(0)
	v_pk_add_f32 v[186:187], v[0:1], v[102:103]
	v_pk_add_f32 v[2:3], v[2:3], v[112:113]
	v_pk_add_f32 v[102:103], v[102:103], v[0:1] neg_lo:[0,1] neg_hi:[0,1]
	v_pk_add_f32 v[2:3], v[2:3], v[114:115]
	s_mov_b32 s14, 0xbf0a6770
	v_pk_add_f32 v[2:3], v[2:3], v[104:105]
	s_mov_b32 s0, 0x3f575c64
	v_pk_add_f32 v[2:3], v[2:3], v[106:107]
	v_pk_add_f32 v[188:189], v[118:119], v[112:113]
	v_pk_add_f32 v[2:3], v[2:3], v[108:109]
	s_mov_b32 s30, 0xbf68dda4
	v_pk_add_f32 v[2:3], v[2:3], v[110:111]
	s_mov_b32 s8, 0x3ed4b147
	v_pk_add_f32 v[2:3], v[2:3], v[116:117]
	v_pk_add_f32 v[190:191], v[116:117], v[114:115]
	;; [unrolled: 1-line block ×3, first 2 shown]
	v_pk_add_f32 v[118:119], v[112:113], v[118:119] neg_lo:[0,1] neg_hi:[0,1]
	v_pk_add_f32 v[2:3], v[2:3], v[0:1]
	v_pk_mul_f32 v[0:1], v[102:103], s[14:15] op_sel_hi:[1,0]
	v_pk_mul_f32 v[112:113], v[118:119], s[30:31] op_sel_hi:[1,0]
	v_pk_fma_f32 v[28:29], v[186:187], s[0:1], v[0:1] op_sel:[0,0,1] op_sel_hi:[1,0,0]
	v_pk_fma_f32 v[250:251], v[186:187], s[0:1], v[0:1] op_sel:[0,0,1] op_sel_hi:[1,0,0] neg_lo:[0,0,1] neg_hi:[0,0,1]
	v_mov_b32_e32 v0, v28
	v_accvgpr_write_b32 a75, v29
	v_mov_b32_e32 v1, v251
	v_pk_fma_f32 v[28:29], v[188:189], s[8:9], v[112:113] op_sel:[0,0,1] op_sel_hi:[1,0,0]
	v_pk_fma_f32 v[254:255], v[188:189], s[8:9], v[112:113] op_sel:[0,0,1] op_sel_hi:[1,0,0] neg_lo:[0,0,1] neg_hi:[0,0,1]
	v_pk_add_f32 v[0:1], v[100:101], v[0:1]
	v_mov_b32_e32 v112, v28
	v_mov_b32_e32 v113, v255
	v_pk_add_f32 v[116:117], v[114:115], v[116:117] neg_lo:[0,1] neg_hi:[0,1]
	s_mov_b32 s12, 0xbf7d64f0
	v_pk_add_f32 v[0:1], v[112:113], v[0:1]
	s_mov_b32 s10, 0xbe11bafb
	v_pk_mul_f32 v[112:113], v[116:117], s[12:13] op_sel_hi:[1,0]
	v_pk_add_f32 v[218:219], v[104:105], v[110:111] neg_lo:[0,1] neg_hi:[0,1]
	s_mov_b32 s18, 0xbf4178ce
	v_accvgpr_write_b32 a77, v29
	v_pk_fma_f32 v[28:29], v[190:191], s[10:11], v[112:113] op_sel:[0,0,1] op_sel_hi:[1,0,0]
	v_pk_fma_f32 v[150:151], v[190:191], s[10:11], v[112:113] op_sel:[0,0,1] op_sel_hi:[1,0,0] neg_lo:[0,0,1] neg_hi:[0,0,1]
	v_pk_add_f32 v[192:193], v[110:111], v[104:105]
	s_mov_b32 s16, 0xbf27a4f4
	v_pk_mul_f32 v[104:105], v[218:219], s[18:19] op_sel_hi:[1,0]
	v_mov_b32_e32 v112, v28
	v_mov_b32_e32 v113, v151
	v_pk_fma_f32 v[130:131], v[192:193], s[16:17], v[104:105] op_sel:[0,0,1] op_sel_hi:[1,0,0]
	v_pk_fma_f32 v[126:127], v[192:193], s[16:17], v[104:105] op_sel:[0,0,1] op_sel_hi:[1,0,0] neg_lo:[0,0,1] neg_hi:[0,0,1]
	v_pk_add_f32 v[0:1], v[112:113], v[0:1]
	v_mov_b32_e32 v104, v130
	v_mov_b32_e32 v105, v127
	v_pk_add_f32 v[220:221], v[108:109], v[106:107]
	v_pk_add_f32 v[106:107], v[106:107], v[108:109] neg_lo:[0,1] neg_hi:[0,1]
	s_mov_b32 s22, 0xbe903f40
	v_pk_add_f32 v[0:1], v[104:105], v[0:1]
	v_pk_mul_f32 v[104:105], v[106:107], s[22:23] op_sel_hi:[1,0]
	s_nop 0
	v_pk_fma_f32 v[134:135], v[220:221], s[20:21], v[104:105] op_sel:[0,0,1] op_sel_hi:[1,0,0]
	v_pk_fma_f32 v[132:133], v[220:221], s[20:21], v[104:105] op_sel:[0,0,1] op_sel_hi:[1,0,0] neg_lo:[0,0,1] neg_hi:[0,0,1]
	v_mov_b32_e32 v104, v134
	v_mov_b32_e32 v105, v133
	v_pk_add_f32 v[0:1], v[104:105], v[0:1]
	s_barrier
	ds_write2_b64 v121, v[2:3], v[0:1] offset1:1
	v_pk_mul_f32 v[0:1], v[102:103], s[30:31] op_sel_hi:[1,0]
	v_pk_mul_f32 v[2:3], v[118:119], s[18:19] op_sel_hi:[1,0]
	v_pk_fma_f32 v[168:169], v[186:187], s[8:9], v[0:1] op_sel:[0,0,1] op_sel_hi:[1,0,0]
	v_pk_fma_f32 v[138:139], v[186:187], s[8:9], v[0:1] op_sel:[0,0,1] op_sel_hi:[1,0,0] neg_lo:[0,0,1] neg_hi:[0,0,1]
	v_mov_b32_e32 v0, v168
	v_mov_b32_e32 v1, v139
	v_pk_fma_f32 v[124:125], v[188:189], s[16:17], v[2:3] op_sel:[0,0,1] op_sel_hi:[1,0,0]
	v_pk_fma_f32 v[142:143], v[188:189], s[16:17], v[2:3] op_sel:[0,0,1] op_sel_hi:[1,0,0] neg_lo:[0,0,1] neg_hi:[0,0,1]
	v_pk_add_f32 v[0:1], v[100:101], v[0:1]
	v_mov_b32_e32 v2, v124
	v_mov_b32_e32 v3, v143
	s_mov_b32 s34, 0x3e903f40
	v_pk_add_f32 v[0:1], v[2:3], v[0:1]
	v_pk_mul_f32 v[2:3], v[116:117], s[34:35] op_sel_hi:[1,0]
	s_mov_b32 s28, 0x3f7d64f0
	v_pk_fma_f32 v[148:149], v[190:191], s[20:21], v[2:3] op_sel:[0,0,1] op_sel_hi:[1,0,0]
	v_pk_fma_f32 v[146:147], v[190:191], s[20:21], v[2:3] op_sel:[0,0,1] op_sel_hi:[1,0,0] neg_lo:[0,0,1] neg_hi:[0,0,1]
	v_mov_b32_e32 v2, v148
	v_mov_b32_e32 v3, v147
	v_pk_add_f32 v[104:105], v[2:3], v[0:1]
	v_pk_mul_f32 v[2:3], v[218:219], s[28:29] op_sel_hi:[1,0]
	s_mov_b32 s24, 0x3f0a6770
	v_pk_fma_f32 v[0:1], v[192:193], s[10:11], v[2:3] op_sel:[0,0,1] op_sel_hi:[1,0,0]
	v_pk_fma_f32 v[2:3], v[192:193], s[10:11], v[2:3] op_sel:[0,0,1] op_sel_hi:[1,0,0] neg_lo:[0,0,1] neg_hi:[0,0,1]
	v_mov_b32_e32 v108, v0
	v_mov_b32_e32 v109, v3
	;; [unrolled: 7-line block ×3, first 2 shown]
	v_pk_add_f32 v[222:223], v[108:109], v[104:105]
	v_pk_mul_f32 v[108:109], v[102:103], s[12:13] op_sel_hi:[1,0]
	v_pk_mul_f32 v[152:153], v[116:117], s[26:27] op_sel_hi:[1,0]
	v_pk_fma_f32 v[104:105], v[186:187], s[10:11], v[108:109] op_sel:[0,0,1] op_sel_hi:[1,0,0]
	v_pk_fma_f32 v[108:109], v[186:187], s[10:11], v[108:109] op_sel:[0,0,1] op_sel_hi:[1,0,0] neg_lo:[0,0,1] neg_hi:[0,0,1]
	v_mov_b32_e32 v110, v104
	v_mov_b32_e32 v111, v109
	v_pk_add_f32 v[112:113], v[100:101], v[110:111]
	v_pk_mul_f32 v[110:111], v[118:119], s[34:35] op_sel_hi:[1,0]
	v_pk_fma_f32 v[252:253], v[190:191], s[8:9], v[152:153] op_sel:[0,0,1] op_sel_hi:[1,0,0] neg_lo:[0,0,1] neg_hi:[0,0,1]
	v_pk_fma_f32 v[114:115], v[188:189], s[20:21], v[110:111] op_sel:[0,0,1] op_sel_hi:[1,0,0]
	v_pk_fma_f32 v[110:111], v[188:189], s[20:21], v[110:111] op_sel:[0,0,1] op_sel_hi:[1,0,0] neg_lo:[0,0,1] neg_hi:[0,0,1]
	v_mov_b32_e32 v128, v114
	v_mov_b32_e32 v129, v111
	v_pk_add_f32 v[128:129], v[128:129], v[112:113]
	v_pk_fma_f32 v[112:113], v[190:191], s[8:9], v[152:153] op_sel:[0,0,1] op_sel_hi:[1,0,0]
	v_mov_b32_e32 v153, v253
	v_mov_b32_e32 v152, v112
	v_pk_add_f32 v[152:153], v[152:153], v[128:129]
	v_pk_mul_f32 v[128:129], v[218:219], s[14:15] op_sel_hi:[1,0]
	v_accvgpr_write_b32 a79, v29
	v_pk_fma_f32 v[184:185], v[192:193], s[0:1], v[128:129] op_sel:[0,0,1] op_sel_hi:[1,0,0]
	v_pk_fma_f32 v[128:129], v[192:193], s[0:1], v[128:129] op_sel:[0,0,1] op_sel_hi:[1,0,0] neg_lo:[0,0,1] neg_hi:[0,0,1]
	v_mov_b32_e32 v224, v184
	v_mov_b32_e32 v225, v129
	v_pk_add_f32 v[224:225], v[224:225], v[152:153]
	v_pk_mul_f32 v[152:153], v[106:107], s[18:19] op_sel_hi:[1,0]
	v_mov_b32_e32 v109, v105
	v_pk_fma_f32 v[248:249], v[220:221], s[16:17], v[152:153] op_sel:[0,0,1] op_sel_hi:[1,0,0]
	v_pk_fma_f32 v[152:153], v[220:221], s[16:17], v[152:153] op_sel:[0,0,1] op_sel_hi:[1,0,0] neg_lo:[0,0,1] neg_hi:[0,0,1]
	v_mov_b32_e32 v226, v248
	v_mov_b32_e32 v227, v153
	v_pk_add_f32 v[224:225], v[226:227], v[224:225]
	ds_write2_b64 v121, v[222:223], v[224:225] offset0:2 offset1:3
	v_pk_mul_f32 v[222:223], v[102:103], s[18:19] op_sel_hi:[1,0]
	v_pk_mul_f32 v[102:103], v[102:103], s[22:23] op_sel_hi:[1,0]
	v_pk_fma_f32 v[28:29], v[186:187], s[16:17], v[222:223] op_sel:[0,0,1] op_sel_hi:[1,0,0]
	v_pk_fma_f32 v[224:225], v[186:187], s[16:17], v[222:223] op_sel:[0,0,1] op_sel_hi:[1,0,0] neg_lo:[0,0,1] neg_hi:[0,0,1]
	v_pk_mul_f32 v[222:223], v[118:119], s[28:29] op_sel_hi:[1,0]
	v_mov_b32_e32 v30, v28
	v_mov_b32_e32 v31, v225
	v_pk_fma_f32 v[156:157], v[188:189], s[10:11], v[222:223] op_sel:[0,0,1] op_sel_hi:[1,0,0]
	v_pk_fma_f32 v[154:155], v[188:189], s[10:11], v[222:223] op_sel:[0,0,1] op_sel_hi:[1,0,0] neg_lo:[0,0,1] neg_hi:[0,0,1]
	v_pk_add_f32 v[30:31], v[100:101], v[30:31]
	v_mov_b32_e32 v222, v156
	v_mov_b32_e32 v223, v155
	v_pk_add_f32 v[30:31], v[222:223], v[30:31]
	v_pk_mul_f32 v[222:223], v[116:117], s[14:15] op_sel_hi:[1,0]
	v_pk_mul_f32 v[118:119], v[118:119], s[24:25] op_sel_hi:[1,0]
	v_pk_fma_f32 v[160:161], v[190:191], s[0:1], v[222:223] op_sel:[0,0,1] op_sel_hi:[1,0,0]
	v_pk_fma_f32 v[158:159], v[190:191], s[0:1], v[222:223] op_sel:[0,0,1] op_sel_hi:[1,0,0] neg_lo:[0,0,1] neg_hi:[0,0,1]
	v_mov_b32_e32 v222, v160
	v_mov_b32_e32 v223, v159
	v_pk_add_f32 v[30:31], v[222:223], v[30:31]
	v_pk_mul_f32 v[222:223], v[218:219], s[22:23] op_sel_hi:[1,0]
	v_pk_fma_f32 v[226:227], v[188:189], s[0:1], v[118:119] op_sel:[0,0,1] op_sel_hi:[1,0,0]
	v_pk_fma_f32 v[164:165], v[192:193], s[20:21], v[222:223] op_sel:[0,0,1] op_sel_hi:[1,0,0]
	v_pk_fma_f32 v[162:163], v[192:193], s[20:21], v[222:223] op_sel:[0,0,1] op_sel_hi:[1,0,0] neg_lo:[0,0,1] neg_hi:[0,0,1]
	v_mov_b32_e32 v222, v164
	v_mov_b32_e32 v223, v163
	v_pk_add_f32 v[30:31], v[222:223], v[30:31]
	v_pk_mul_f32 v[222:223], v[106:107], s[26:27] op_sel_hi:[1,0]
	v_pk_fma_f32 v[118:119], v[188:189], s[0:1], v[118:119] op_sel:[0,0,1] op_sel_hi:[1,0,0] neg_lo:[0,0,1] neg_hi:[0,0,1]
	v_pk_fma_f32 v[144:145], v[220:221], s[8:9], v[222:223] op_sel:[0,0,1] op_sel_hi:[1,0,0]
	v_pk_fma_f32 v[166:167], v[220:221], s[8:9], v[222:223] op_sel:[0,0,1] op_sel_hi:[1,0,0] neg_lo:[0,0,1] neg_hi:[0,0,1]
	v_mov_b32_e32 v222, v144
	v_mov_b32_e32 v223, v167
	v_pk_add_f32 v[30:31], v[222:223], v[30:31]
	v_pk_fma_f32 v[222:223], v[186:187], s[20:21], v[102:103] op_sel:[0,0,1] op_sel_hi:[1,0,0]
	v_pk_fma_f32 v[102:103], v[186:187], s[20:21], v[102:103] op_sel:[0,0,1] op_sel_hi:[1,0,0] neg_lo:[0,0,1] neg_hi:[0,0,1]
	v_mov_b32_e32 v186, v222
	v_mov_b32_e32 v187, v103
	v_pk_add_f32 v[186:187], v[100:101], v[186:187]
	v_mov_b32_e32 v188, v226
	v_mov_b32_e32 v189, v119
	v_pk_mul_f32 v[116:117], v[116:117], s[18:19] op_sel_hi:[1,0]
	v_pk_add_f32 v[186:187], v[188:189], v[186:187]
	v_pk_fma_f32 v[188:189], v[190:191], s[16:17], v[116:117] op_sel:[0,0,1] op_sel_hi:[1,0,0]
	v_pk_fma_f32 v[116:117], v[190:191], s[16:17], v[116:117] op_sel:[0,0,1] op_sel_hi:[1,0,0] neg_lo:[0,0,1] neg_hi:[0,0,1]
	v_mov_b32_e32 v190, v188
	v_mov_b32_e32 v191, v117
	v_pk_add_f32 v[186:187], v[190:191], v[186:187]
	v_pk_mul_f32 v[190:191], v[218:219], s[26:27] op_sel_hi:[1,0]
	v_pk_mul_f32 v[106:107], v[106:107], s[12:13] op_sel_hi:[1,0]
	v_pk_fma_f32 v[218:219], v[192:193], s[8:9], v[190:191] op_sel:[0,0,1] op_sel_hi:[1,0,0]
	v_pk_fma_f32 v[190:191], v[192:193], s[8:9], v[190:191] op_sel:[0,0,1] op_sel_hi:[1,0,0] neg_lo:[0,0,1] neg_hi:[0,0,1]
	v_mov_b32_e32 v192, v218
	v_mov_b32_e32 v193, v191
	v_pk_add_f32 v[186:187], v[192:193], v[186:187]
	v_pk_fma_f32 v[192:193], v[220:221], s[10:11], v[106:107] op_sel:[0,0,1] op_sel_hi:[1,0,0]
	v_pk_fma_f32 v[106:107], v[220:221], s[10:11], v[106:107] op_sel:[0,0,1] op_sel_hi:[1,0,0] neg_lo:[0,0,1] neg_hi:[0,0,1]
	v_mov_b32_e32 v220, v192
	v_mov_b32_e32 v221, v107
	v_pk_add_f32 v[186:187], v[220:221], v[186:187]
	v_mov_b32_e32 v103, v223
	v_mov_b32_e32 v225, v29
	ds_write2_b64 v121, v[30:31], v[186:187] offset0:4 offset1:5
	v_mov_b32_e32 v119, v227
	v_pk_add_f32 v[30:31], v[100:101], v[102:103]
	v_mov_b32_e32 v155, v157
	v_pk_add_f32 v[28:29], v[100:101], v[224:225]
	v_pk_add_f32 v[30:31], v[118:119], v[30:31]
	v_mov_b32_e32 v117, v189
	v_pk_add_f32 v[28:29], v[154:155], v[28:29]
	v_mov_b32_e32 v159, v161
	v_pk_add_f32 v[30:31], v[116:117], v[30:31]
	v_mov_b32_e32 v191, v219
	v_pk_add_f32 v[28:29], v[158:159], v[28:29]
	v_mov_b32_e32 v163, v165
	v_pk_add_f32 v[30:31], v[190:191], v[30:31]
	v_mov_b32_e32 v107, v193
	v_pk_add_f32 v[28:29], v[162:163], v[28:29]
	v_mov_b32_e32 v167, v145
	v_accvgpr_read_b32 v155, a51
	v_pk_add_f32 v[30:31], v[106:107], v[30:31]
	v_pk_add_f32 v[28:29], v[166:167], v[28:29]
	v_accvgpr_read_b32 v154, a50
	ds_write2_b64 v121, v[30:31], v[28:29] offset0:6 offset1:7
	v_mov_b32_e32 v29, v154
	v_mov_b32_e32 v28, v154
	v_accvgpr_write_b32 a71, v29
	v_accvgpr_write_b32 a70, v28
	v_mov_b32_e32 v29, v136
	v_mov_b32_e32 v28, v136
	v_accvgpr_write_b32 a67, v29
	v_mov_b32_e32 v139, v169
	v_accvgpr_write_b32 a66, v28
	v_mov_b32_e32 v111, v115
	v_pk_add_f32 v[28:29], v[100:101], v[108:109]
	v_pk_add_f32 v[30:31], v[100:101], v[138:139]
	v_mov_b32_e32 v143, v125
	v_pk_add_f32 v[28:29], v[110:111], v[28:29]
	v_mov_b32_e32 v253, v113
	;; [unrolled: 2-line block ×7, first 2 shown]
	v_pk_add_f32 v[28:29], v[152:153], v[28:29]
	v_pk_add_f32 v[0:1], v[122:123], v[0:1]
	v_accvgpr_read_b32 v251, a75
	ds_write2_b64 v121, v[28:29], v[0:1] offset0:8 offset1:9
	v_pk_add_f32 v[0:1], v[100:101], v[250:251]
	v_accvgpr_read_b32 v255, a77
	v_pk_add_f32 v[0:1], v[254:255], v[0:1]
	v_accvgpr_read_b32 v151, a79
	v_accvgpr_read_b32 v145, a49
	;; [unrolled: 1-line block ×7, first 2 shown]
	v_pk_add_f32 v[0:1], v[150:151], v[0:1]
	v_mov_b32_e32 v127, v131
	v_accvgpr_read_b32 v144, a48
	v_accvgpr_read_b32 v162, a58
	;; [unrolled: 1-line block ×6, first 2 shown]
	v_pk_add_f32 v[0:1], v[126:127], v[0:1]
	v_mov_b32_e32 v133, v135
	v_mov_b32_e32 v216, v20
	;; [unrolled: 1-line block ×46, first 2 shown]
	v_accvgpr_write_b32 a72, v50
	v_accvgpr_write_b32 a73, v50
	v_mov_b32_e32 v50, v51
	v_mov_b32_e32 v44, v45
	v_accvgpr_write_b32 a64, v46
	v_accvgpr_write_b32 a65, v46
	v_mov_b32_e32 v46, v47
	v_mov_b32_e32 v40, v41
	;; [unrolled: 1-line block ×85, first 2 shown]
	v_pk_add_f32 v[0:1], v[132:133], v[0:1]
	ds_write_b64 v121, v[0:1] offset:80
	s_and_saveexec_b64 s[36:37], vcc
	s_cbranch_execz .LBB0_13
; %bb.12:
	v_pk_add_f32 v[0:1], v[90:91], v[88:89]
	v_accvgpr_read_b32 v28, a34
	v_pk_add_f32 v[0:1], v[92:93], v[0:1]
	v_accvgpr_read_b32 v29, a35
	;; [unrolled: 2-line block ×5, first 2 shown]
	v_pk_add_f32 v[0:1], v[28:29], v[0:1]
	v_lshlrev_b32_e32 v121, 3, v2
	v_pk_add_f32 v[0:1], v[30:31], v[0:1]
	v_accvgpr_read_b32 v2, a32
	v_pk_add_f32 v[0:1], v[174:175], v[0:1]
	v_accvgpr_read_b32 v3, a33
	v_pk_add_f32 v[0:1], v[176:177], v[0:1]
	v_pk_add_f32 v[122:123], v[2:3], v[90:91]
	v_pk_add_f32 v[90:91], v[90:91], v[2:3] neg_lo:[0,1] neg_hi:[0,1]
	v_pk_add_f32 v[100:101], v[2:3], v[0:1]
	v_pk_add_f32 v[124:125], v[176:177], v[92:93]
	v_pk_add_f32 v[92:93], v[92:93], v[176:177] neg_lo:[0,1] neg_hi:[0,1]
	v_pk_mul_f32 v[2:3], v[90:91], s[14:15] op_sel_hi:[1,0]
	v_pk_add_f32 v[128:129], v[30:31], v[96:97]
	v_pk_add_f32 v[96:97], v[96:97], v[30:31] neg_lo:[0,1] neg_hi:[0,1]
	v_pk_add_f32 v[130:131], v[28:29], v[98:99]
	v_pk_add_f32 v[98:99], v[98:99], v[28:29] neg_lo:[0,1] neg_hi:[0,1]
	v_pk_fma_f32 v[28:29], v[122:123], s[0:1], v[2:3] op_sel:[0,0,1] op_sel_hi:[1,0,0]
	v_pk_fma_f32 v[2:3], v[122:123], s[0:1], v[2:3] op_sel:[0,0,1] op_sel_hi:[1,0,0] neg_lo:[0,0,1] neg_hi:[0,0,1]
	v_pk_mul_f32 v[30:31], v[92:93], s[30:31] op_sel_hi:[1,0]
	v_accvgpr_write_b32 a39, v29
	v_mov_b32_e32 v29, v3
	v_pk_fma_f32 v[134:135], v[124:125], s[8:9], v[30:31] op_sel:[0,0,1] op_sel_hi:[1,0,0]
	v_pk_fma_f32 v[30:31], v[124:125], s[8:9], v[30:31] op_sel:[0,0,1] op_sel_hi:[1,0,0] neg_lo:[0,0,1] neg_hi:[0,0,1]
	v_pk_add_f32 v[126:127], v[174:175], v[94:95]
	v_pk_add_f32 v[94:95], v[94:95], v[174:175] neg_lo:[0,1] neg_hi:[0,1]
	v_pk_add_f32 v[132:133], v[88:89], v[28:29]
	v_accvgpr_write_b32 a61, v135
	v_mov_b32_e32 v135, v31
	v_pk_add_f32 v[132:133], v[134:135], v[132:133]
	v_pk_mul_f32 v[134:135], v[94:95], s[12:13] op_sel_hi:[1,0]
	v_pk_mul_f32 v[148:149], v[92:93], s[18:19] op_sel_hi:[1,0]
	v_pk_fma_f32 v[138:139], v[126:127], s[10:11], v[134:135] op_sel:[0,0,1] op_sel_hi:[1,0,0]
	v_pk_fma_f32 v[134:135], v[126:127], s[10:11], v[134:135] op_sel:[0,0,1] op_sel_hi:[1,0,0] neg_lo:[0,0,1] neg_hi:[0,0,1]
	v_accvgpr_write_b32 a75, v139
	v_mov_b32_e32 v139, v135
	v_pk_add_f32 v[132:133], v[138:139], v[132:133]
	v_pk_mul_f32 v[138:139], v[96:97], s[18:19] op_sel_hi:[1,0]
	v_pk_fma_f32 v[152:153], v[124:125], s[16:17], v[148:149] op_sel:[0,0,1] op_sel_hi:[1,0,0]
	v_pk_fma_f32 v[142:143], v[128:129], s[16:17], v[138:139] op_sel:[0,0,1] op_sel_hi:[1,0,0]
	v_pk_fma_f32 v[138:139], v[128:129], s[16:17], v[138:139] op_sel:[0,0,1] op_sel_hi:[1,0,0] neg_lo:[0,0,1] neg_hi:[0,0,1]
	v_accvgpr_write_b32 a77, v143
	v_mov_b32_e32 v143, v139
	v_pk_add_f32 v[132:133], v[142:143], v[132:133]
	v_pk_mul_f32 v[142:143], v[98:99], s[22:23] op_sel_hi:[1,0]
	v_pk_fma_f32 v[148:149], v[124:125], s[16:17], v[148:149] op_sel:[0,0,1] op_sel_hi:[1,0,0] neg_lo:[0,0,1] neg_hi:[0,0,1]
	v_pk_fma_f32 v[146:147], v[130:131], s[20:21], v[142:143] op_sel:[0,0,1] op_sel_hi:[1,0,0]
	v_pk_fma_f32 v[142:143], v[130:131], s[20:21], v[142:143] op_sel:[0,0,1] op_sel_hi:[1,0,0] neg_lo:[0,0,1] neg_hi:[0,0,1]
	v_accvgpr_write_b32 a79, v147
	v_mov_b32_e32 v147, v143
	v_pk_add_f32 v[132:133], v[146:147], v[132:133]
	ds_write2_b64 v121, v[100:101], v[132:133] offset1:1
	v_pk_mul_f32 v[100:101], v[90:91], s[30:31] op_sel_hi:[1,0]
	v_mov_b32_e32 v139, v153
	v_pk_fma_f32 v[146:147], v[122:123], s[8:9], v[100:101] op_sel:[0,0,1] op_sel_hi:[1,0,0]
	v_pk_fma_f32 v[100:101], v[122:123], s[8:9], v[100:101] op_sel:[0,0,1] op_sel_hi:[1,0,0] neg_lo:[0,0,1] neg_hi:[0,0,1]
	v_mov_b32_e32 v135, v147
	v_mov_b32_e32 v147, v101
	v_pk_add_f32 v[146:147], v[88:89], v[146:147]
	v_mov_b32_e32 v153, v149
	v_pk_add_f32 v[146:147], v[152:153], v[146:147]
	v_pk_mul_f32 v[152:153], v[94:95], s[34:35] op_sel_hi:[1,0]
	v_accvgpr_write_b32 a48, v156
	v_pk_fma_f32 v[0:1], v[126:127], s[20:21], v[152:153] op_sel:[0,0,1] op_sel_hi:[1,0,0]
	v_pk_fma_f32 v[152:153], v[126:127], s[20:21], v[152:153] op_sel:[0,0,1] op_sel_hi:[1,0,0] neg_lo:[0,0,1] neg_hi:[0,0,1]
	v_accvgpr_write_b32 a49, v157
	v_mov_b32_e32 v156, v0
	v_mov_b32_e32 v157, v153
	v_pk_add_f32 v[146:147], v[156:157], v[146:147]
	v_pk_mul_f32 v[156:157], v[96:97], s[28:29] op_sel_hi:[1,0]
	v_accvgpr_write_b32 a52, v160
	v_pk_fma_f32 v[150:151], v[128:129], s[10:11], v[156:157] op_sel:[0,0,1] op_sel_hi:[1,0,0]
	v_pk_fma_f32 v[156:157], v[128:129], s[10:11], v[156:157] op_sel:[0,0,1] op_sel_hi:[1,0,0] neg_lo:[0,0,1] neg_hi:[0,0,1]
	v_accvgpr_write_b32 a53, v161
	v_mov_b32_e32 v160, v150
	;; [unrolled: 8-line block ×3, first 2 shown]
	v_mov_b32_e32 v165, v161
	v_pk_add_f32 v[146:147], v[164:165], v[146:147]
	v_pk_mul_f32 v[164:165], v[90:91], s[12:13] op_sel_hi:[1,0]
	v_accvgpr_write_b32 a58, v166
	v_accvgpr_write_b32 a59, v167
	v_pk_fma_f32 v[166:167], v[122:123], s[10:11], v[164:165] op_sel:[0,0,1] op_sel_hi:[1,0,0]
	v_pk_fma_f32 v[164:165], v[122:123], s[10:11], v[164:165] op_sel:[0,0,1] op_sel_hi:[1,0,0] neg_lo:[0,0,1] neg_hi:[0,0,1]
	v_pk_mul_f32 v[250:251], v[92:93], s[34:35] op_sel_hi:[1,0]
	v_mov_b32_e32 v248, v166
	v_mov_b32_e32 v249, v165
	v_pk_fma_f32 v[252:253], v[124:125], s[20:21], v[250:251] op_sel:[0,0,1] op_sel_hi:[1,0,0]
	v_pk_fma_f32 v[250:251], v[124:125], s[20:21], v[250:251] op_sel:[0,0,1] op_sel_hi:[1,0,0] neg_lo:[0,0,1] neg_hi:[0,0,1]
	v_pk_add_f32 v[248:249], v[88:89], v[248:249]
	v_mov_b32_e32 v254, v252
	v_mov_b32_e32 v255, v251
	v_pk_add_f32 v[248:249], v[254:255], v[248:249]
	v_pk_mul_f32 v[254:255], v[94:95], s[26:27] op_sel_hi:[1,0]
	v_mov_b32_e32 v143, v1
	v_pk_fma_f32 v[28:29], v[126:127], s[8:9], v[254:255] op_sel:[0,0,1] op_sel_hi:[1,0,0]
	v_pk_fma_f32 v[254:255], v[126:127], s[8:9], v[254:255] op_sel:[0,0,1] op_sel_hi:[1,0,0] neg_lo:[0,0,1] neg_hi:[0,0,1]
	v_mov_b32_e32 v0, v28
	v_mov_b32_e32 v1, v255
	v_pk_add_f32 v[0:1], v[0:1], v[248:249]
	v_pk_mul_f32 v[248:249], v[96:97], s[14:15] op_sel_hi:[1,0]
	v_mov_b32_e32 v31, v173
	v_pk_fma_f32 v[172:173], v[128:129], s[0:1], v[248:249] op_sel:[0,0,1] op_sel_hi:[1,0,0]
	v_pk_fma_f32 v[248:249], v[128:129], s[0:1], v[248:249] op_sel:[0,0,1] op_sel_hi:[1,0,0] neg_lo:[0,0,1] neg_hi:[0,0,1]
	v_mov_b32_e32 v168, v172
	v_mov_b32_e32 v169, v249
	v_pk_add_f32 v[0:1], v[168:169], v[0:1]
	v_pk_mul_f32 v[168:169], v[98:99], s[18:19] op_sel_hi:[1,0]
	v_accvgpr_write_b32 a32, v136
	v_accvgpr_write_b32 a33, v137
	v_pk_fma_f32 v[136:137], v[130:131], s[16:17], v[168:169] op_sel:[0,0,1] op_sel_hi:[1,0,0]
	v_pk_fma_f32 v[168:169], v[130:131], s[16:17], v[168:169] op_sel:[0,0,1] op_sel_hi:[1,0,0] neg_lo:[0,0,1] neg_hi:[0,0,1]
	v_mov_b32_e32 v140, v136
	v_mov_b32_e32 v141, v169
	v_pk_add_f32 v[0:1], v[140:141], v[0:1]
	ds_write2_b64 v121, v[146:147], v[0:1] offset0:2 offset1:3
	v_pk_mul_f32 v[0:1], v[90:91], s[18:19] op_sel_hi:[1,0]
	v_mov_b32_e32 v3, v170
	v_pk_fma_f32 v[140:141], v[122:123], s[16:17], v[0:1] op_sel:[0,0,1] op_sel_hi:[1,0,0]
	v_pk_fma_f32 v[0:1], v[122:123], s[16:17], v[0:1] op_sel:[0,0,1] op_sel_hi:[1,0,0] neg_lo:[0,0,1] neg_hi:[0,0,1]
	v_mov_b32_e32 v28, v171
	v_pk_mul_f32 v[170:171], v[92:93], s[28:29] op_sel_hi:[1,0]
	v_accvgpr_write_b32 a34, v144
	v_mov_b32_e32 v146, v140
	v_mov_b32_e32 v147, v1
	v_accvgpr_write_b32 a35, v145
	v_pk_fma_f32 v[144:145], v[124:125], s[10:11], v[170:171] op_sel:[0,0,1] op_sel_hi:[1,0,0]
	v_pk_fma_f32 v[170:171], v[124:125], s[10:11], v[170:171] op_sel:[0,0,1] op_sel_hi:[1,0,0] neg_lo:[0,0,1] neg_hi:[0,0,1]
	v_pk_add_f32 v[146:147], v[88:89], v[146:147]
	v_mov_b32_e32 v102, v144
	v_mov_b32_e32 v103, v171
	v_pk_add_f32 v[102:103], v[102:103], v[146:147]
	v_pk_mul_f32 v[146:147], v[94:95], s[14:15] op_sel_hi:[1,0]
	v_accvgpr_write_b32 a50, v158
	v_accvgpr_write_b32 a51, v159
	v_pk_fma_f32 v[158:159], v[126:127], s[0:1], v[146:147] op_sel:[0,0,1] op_sel_hi:[1,0,0]
	v_pk_fma_f32 v[146:147], v[126:127], s[0:1], v[146:147] op_sel:[0,0,1] op_sel_hi:[1,0,0] neg_lo:[0,0,1] neg_hi:[0,0,1]
	v_accvgpr_write_b32 a36, v154
	v_accvgpr_write_b32 a37, v155
	v_mov_b32_e32 v154, v158
	v_mov_b32_e32 v155, v147
	v_pk_add_f32 v[102:103], v[154:155], v[102:103]
	v_pk_mul_f32 v[154:155], v[96:97], s[22:23] op_sel_hi:[1,0]
	v_accvgpr_write_b32 a54, v162
	v_pk_fma_f32 v[104:105], v[128:129], s[20:21], v[154:155] op_sel:[0,0,1] op_sel_hi:[1,0,0]
	v_pk_fma_f32 v[154:155], v[128:129], s[20:21], v[154:155] op_sel:[0,0,1] op_sel_hi:[1,0,0] neg_lo:[0,0,1] neg_hi:[0,0,1]
	v_accvgpr_write_b32 a55, v163
	v_mov_b32_e32 v162, v104
	v_mov_b32_e32 v163, v155
	v_pk_add_f32 v[102:103], v[162:163], v[102:103]
	v_pk_mul_f32 v[162:163], v[98:99], s[26:27] op_sel_hi:[1,0]
	v_pk_mul_f32 v[90:91], v[90:91], s[22:23] op_sel_hi:[1,0]
	v_pk_fma_f32 v[176:177], v[130:131], s[8:9], v[162:163] op_sel:[0,0,1] op_sel_hi:[1,0,0]
	v_pk_fma_f32 v[162:163], v[130:131], s[8:9], v[162:163] op_sel:[0,0,1] op_sel_hi:[1,0,0] neg_lo:[0,0,1] neg_hi:[0,0,1]
	v_mov_b32_e32 v174, v176
	v_mov_b32_e32 v175, v163
	v_pk_add_f32 v[102:103], v[174:175], v[102:103]
	v_pk_fma_f32 v[174:175], v[122:123], s[20:21], v[90:91] op_sel:[0,0,1] op_sel_hi:[1,0,0]
	v_pk_fma_f32 v[90:91], v[122:123], s[20:21], v[90:91] op_sel:[0,0,1] op_sel_hi:[1,0,0] neg_lo:[0,0,1] neg_hi:[0,0,1]
	v_pk_mul_f32 v[92:93], v[92:93], s[24:25] op_sel_hi:[1,0]
	v_mov_b32_e32 v122, v174
	v_mov_b32_e32 v123, v91
	v_pk_fma_f32 v[106:107], v[124:125], s[0:1], v[92:93] op_sel:[0,0,1] op_sel_hi:[1,0,0]
	v_pk_fma_f32 v[92:93], v[124:125], s[0:1], v[92:93] op_sel:[0,0,1] op_sel_hi:[1,0,0] neg_lo:[0,0,1] neg_hi:[0,0,1]
	v_pk_add_f32 v[122:123], v[88:89], v[122:123]
	v_mov_b32_e32 v124, v106
	v_mov_b32_e32 v125, v93
	v_pk_mul_f32 v[94:95], v[94:95], s[18:19] op_sel_hi:[1,0]
	v_pk_add_f32 v[122:123], v[124:125], v[122:123]
	v_pk_fma_f32 v[124:125], v[126:127], s[16:17], v[94:95] op_sel:[0,0,1] op_sel_hi:[1,0,0]
	v_pk_fma_f32 v[94:95], v[126:127], s[16:17], v[94:95] op_sel:[0,0,1] op_sel_hi:[1,0,0] neg_lo:[0,0,1] neg_hi:[0,0,1]
	v_mov_b32_e32 v126, v124
	v_mov_b32_e32 v127, v95
	v_pk_mul_f32 v[96:97], v[96:97], s[26:27] op_sel_hi:[1,0]
	v_mov_b32_e32 v91, v175
	v_mov_b32_e32 v1, v141
	v_pk_add_f32 v[122:123], v[126:127], v[122:123]
	v_pk_fma_f32 v[126:127], v[128:129], s[8:9], v[96:97] op_sel:[0,0,1] op_sel_hi:[1,0,0]
	v_pk_fma_f32 v[96:97], v[128:129], s[8:9], v[96:97] op_sel:[0,0,1] op_sel_hi:[1,0,0] neg_lo:[0,0,1] neg_hi:[0,0,1]
	v_pk_add_f32 v[90:91], v[88:89], v[90:91]
	v_mov_b32_e32 v93, v107
	v_pk_add_f32 v[0:1], v[88:89], v[0:1]
	v_mov_b32_e32 v171, v145
	v_mov_b32_e32 v128, v126
	;; [unrolled: 1-line block ×3, first 2 shown]
	v_pk_mul_f32 v[98:99], v[98:99], s[12:13] op_sel_hi:[1,0]
	v_pk_add_f32 v[90:91], v[92:93], v[90:91]
	v_mov_b32_e32 v95, v125
	v_pk_add_f32 v[0:1], v[170:171], v[0:1]
	v_mov_b32_e32 v147, v159
	v_pk_add_f32 v[122:123], v[128:129], v[122:123]
	v_pk_fma_f32 v[128:129], v[130:131], s[10:11], v[98:99] op_sel:[0,0,1] op_sel_hi:[1,0,0]
	v_pk_fma_f32 v[98:99], v[130:131], s[10:11], v[98:99] op_sel:[0,0,1] op_sel_hi:[1,0,0] neg_lo:[0,0,1] neg_hi:[0,0,1]
	v_pk_add_f32 v[90:91], v[94:95], v[90:91]
	v_mov_b32_e32 v97, v127
	v_pk_add_f32 v[0:1], v[146:147], v[0:1]
	v_mov_b32_e32 v155, v105
	v_mov_b32_e32 v131, v99
	v_pk_add_f32 v[90:91], v[96:97], v[90:91]
	v_mov_b32_e32 v99, v129
	v_pk_add_f32 v[0:1], v[154:155], v[0:1]
	;; [unrolled: 2-line block ×3, first 2 shown]
	v_pk_add_f32 v[0:1], v[162:163], v[0:1]
	v_mov_b32_e32 v165, v167
	v_mov_b32_e32 v101, v135
	;; [unrolled: 1-line block ×3, first 2 shown]
	ds_write2_b64 v121, v[90:91], v[0:1] offset0:6 offset1:7
	v_pk_add_f32 v[0:1], v[88:89], v[164:165]
	v_mov_b32_e32 v251, v253
	v_mov_b32_e32 v255, v29
	v_pk_add_f32 v[28:29], v[88:89], v[100:101]
	v_mov_b32_e32 v149, v139
	v_pk_add_f32 v[0:1], v[250:251], v[0:1]
	v_pk_add_f32 v[28:29], v[148:149], v[28:29]
	v_mov_b32_e32 v153, v143
	v_pk_add_f32 v[0:1], v[254:255], v[0:1]
	v_mov_b32_e32 v249, v173
	;; [unrolled: 2-line block ×5, first 2 shown]
	v_mov_b32_e32 v170, v3
	v_pk_add_f32 v[0:1], v[168:169], v[0:1]
	v_pk_add_f32 v[28:29], v[160:161], v[28:29]
	v_accvgpr_read_b32 v3, a39
	v_mov_b32_e32 v173, v31
	ds_write2_b64 v121, v[0:1], v[28:29] offset0:8 offset1:9
	v_pk_add_f32 v[0:1], v[88:89], v[2:3]
	v_accvgpr_read_b32 v31, a61
	v_pk_add_f32 v[0:1], v[30:31], v[0:1]
	v_accvgpr_read_b32 v135, a75
	;; [unrolled: 2-line block ×3, first 2 shown]
	v_mov_b32_e32 v130, v128
	v_accvgpr_read_b32 v145, a35
	v_accvgpr_read_b32 v159, a51
	;; [unrolled: 1-line block ×9, first 2 shown]
	v_pk_add_f32 v[0:1], v[138:139], v[0:1]
	v_accvgpr_read_b32 v143, a79
	v_pk_add_f32 v[122:123], v[130:131], v[122:123]
	v_accvgpr_read_b32 v144, a34
	v_accvgpr_read_b32 v158, a50
	;; [unrolled: 1-line block ×10, first 2 shown]
	v_pk_add_f32 v[0:1], v[142:143], v[0:1]
	ds_write2_b64 v121, v[102:103], v[122:123] offset0:4 offset1:5
	ds_write_b64 v121, v[0:1] offset:80
.LBB0_13:
	s_or_b64 exec, exec, s[36:37]
	v_add_u32_e32 v2, 0x1c00, v120
	s_waitcnt lgkmcnt(0)
	s_barrier
	ds_read2_b64 v[88:91], v2 offset0:94 offset1:193
	v_add_u32_e32 v28, 0x3000, v120
	ds_read2_b64 v[92:95], v28 offset0:48 offset1:147
	v_add_u32_e32 v3, 0x2800, v120
	s_mov_b32 s0, 0x3f5db3d7
	s_waitcnt lgkmcnt(1)
	v_pk_mul_f32 v[12:13], v[12:13], v[88:89]
	v_pk_mul_f32 v[0:1], v[20:21], v[90:91]
	v_pk_fma_f32 v[96:97], v[212:213], v[88:89], v[12:13] op_sel:[0,0,1] op_sel_hi:[1,1,0]
	v_pk_fma_f32 v[12:13], v[212:213], v[88:89], v[12:13] op_sel:[0,0,1] op_sel_hi:[1,1,0] neg_lo:[0,0,1] neg_hi:[0,0,1]
	s_waitcnt lgkmcnt(0)
	v_pk_mul_f32 v[20:21], v[22:23], v[94:95]
	v_add_u32_e32 v12, 0x1800, v120
	v_pk_fma_f32 v[30:31], v[216:217], v[90:91], v[0:1] op_sel:[0,0,1] op_sel_hi:[1,1,0]
	v_pk_fma_f32 v[0:1], v[216:217], v[90:91], v[0:1] op_sel:[0,0,1] op_sel_hi:[1,1,0] neg_lo:[0,0,1] neg_hi:[0,0,1]
	v_pk_fma_f32 v[90:91], v[214:215], v[94:95], v[20:21] op_sel:[0,0,1] op_sel_hi:[1,1,0]
	v_pk_fma_f32 v[94:95], v[214:215], v[94:95], v[20:21] op_sel:[0,0,1] op_sel_hi:[1,1,0] neg_lo:[0,0,1] neg_hi:[0,0,1]
	ds_read2_b64 v[20:23], v12 offset0:24 offset1:123
	v_pk_mul_f32 v[14:15], v[14:15], v[92:93]
	v_mov_b32_e32 v31, v1
	v_pk_fma_f32 v[88:89], v[210:211], v[92:93], v[14:15] op_sel:[0,0,1] op_sel_hi:[1,1,0]
	v_pk_fma_f32 v[92:93], v[210:211], v[92:93], v[14:15] op_sel:[0,0,1] op_sel_hi:[1,1,0] neg_lo:[0,0,1] neg_hi:[0,0,1]
	s_waitcnt lgkmcnt(0)
	v_pk_mul_f32 v[8:9], v[8:9], v[22:23]
	v_pk_mul_f32 v[4:5], v[4:5], v[20:21]
	v_pk_fma_f32 v[98:99], v[208:209], v[22:23], v[8:9] op_sel:[0,0,1] op_sel_hi:[1,1,0]
	v_pk_fma_f32 v[100:101], v[208:209], v[22:23], v[8:9] op_sel:[0,0,1] op_sel_hi:[1,1,0] neg_lo:[0,0,1] neg_hi:[0,0,1]
	v_pk_fma_f32 v[102:103], v[206:207], v[20:21], v[4:5] op_sel:[0,0,1] op_sel_hi:[1,1,0]
	v_pk_fma_f32 v[104:105], v[206:207], v[20:21], v[4:5] op_sel:[0,0,1] op_sel_hi:[1,1,0] neg_lo:[0,0,1] neg_hi:[0,0,1]
	ds_read2_b64 v[20:23], v3 offset0:106 offset1:205
	v_mov_b32_e32 v91, v95
	v_pk_add_f32 v[0:1], v[30:31], v[90:91]
	v_pk_add_f32 v[94:95], v[30:31], v[90:91] neg_lo:[0,1] neg_hi:[0,1]
	v_accvgpr_read_b32 v29, a28
	s_waitcnt lgkmcnt(0)
	v_pk_mul_f32 v[4:5], v[10:11], v[22:23]
	v_pk_mul_f32 v[94:95], v[94:95], s[0:1] op_sel_hi:[1,0]
	v_pk_fma_f32 v[106:107], v[202:203], v[22:23], v[4:5] op_sel:[0,0,1] op_sel_hi:[1,1,0]
	v_pk_fma_f32 v[22:23], v[202:203], v[22:23], v[4:5] op_sel:[0,0,1] op_sel_hi:[1,1,0] neg_lo:[0,0,1] neg_hi:[0,0,1]
	v_pk_mul_f32 v[4:5], v[6:7], v[20:21]
	v_mov_b32_e32 v97, v13
	v_pk_fma_f32 v[122:123], v[204:205], v[20:21], v[4:5] op_sel:[0,0,1] op_sel_hi:[1,1,0]
	v_pk_fma_f32 v[124:125], v[204:205], v[20:21], v[4:5] op_sel:[0,0,1] op_sel_hi:[1,1,0] neg_lo:[0,0,1] neg_hi:[0,0,1]
	v_add_u32_e32 v5, 0x1000, v120
	ds_read2_b64 v[6:9], v5 offset0:82 offset1:181
	v_add_u32_e32 v4, 0x800, v120
	v_mov_b32_e32 v89, v93
	v_pk_add_f32 v[92:93], v[96:97], v[88:89]
	v_mov_b32_e32 v99, v101
	s_waitcnt lgkmcnt(0)
	v_pk_mul_f32 v[10:11], v[24:25], v[8:9]
	v_mov_b32_e32 v107, v23
	v_pk_fma_f32 v[24:25], v[200:201], v[8:9], v[10:11] op_sel:[0,0,1] op_sel_hi:[1,1,0]
	v_pk_fma_f32 v[126:127], v[200:201], v[8:9], v[10:11] op_sel:[0,0,1] op_sel_hi:[1,1,0] neg_lo:[0,0,1] neg_hi:[0,0,1]
	v_pk_mul_f32 v[8:9], v[16:17], v[6:7]
	v_pk_add_f32 v[22:23], v[98:99], v[106:107]
	v_pk_fma_f32 v[14:15], v[198:199], v[6:7], v[8:9] op_sel:[0,0,1] op_sel_hi:[1,1,0]
	v_pk_fma_f32 v[6:7], v[198:199], v[6:7], v[8:9] op_sel:[0,0,1] op_sel_hi:[1,1,0] neg_lo:[0,0,1] neg_hi:[0,0,1]
	v_mov_b32_e32 v103, v105
	v_add_u32_e32 v6, 0x2400, v120
	ds_read2_b64 v[8:11], v6 offset0:36 offset1:135
	v_mov_b32_e32 v15, v7
	v_add_u32_e32 v7, 0x400, v120
	v_mov_b32_e32 v123, v125
	v_pk_add_f32 v[104:105], v[102:103], v[122:123] neg_lo:[0,1] neg_hi:[0,1]
	s_waitcnt lgkmcnt(0)
	v_pk_mul_f32 v[16:17], v[26:27], v[10:11]
	v_mov_b32_e32 v25, v127
	v_pk_fma_f32 v[26:27], v[194:195], v[10:11], v[16:17] op_sel:[0,0,1] op_sel_hi:[1,1,0]
	v_pk_fma_f32 v[128:129], v[194:195], v[10:11], v[16:17] op_sel:[0,0,1] op_sel_hi:[1,1,0] neg_lo:[0,0,1] neg_hi:[0,0,1]
	v_pk_mul_f32 v[10:11], v[18:19], v[8:9]
	v_mov_b32_e32 v27, v129
	v_pk_fma_f32 v[16:17], v[196:197], v[8:9], v[10:11] op_sel:[0,0,1] op_sel_hi:[1,1,0]
	v_pk_fma_f32 v[18:19], v[196:197], v[8:9], v[10:11] op_sel:[0,0,1] op_sel_hi:[1,1,0] neg_lo:[0,0,1] neg_hi:[0,0,1]
	ds_read2_b64 v[8:11], v120 offset1:99
	v_mov_b32_e32 v17, v19
	v_pk_mul_f32 v[104:105], v[104:105], s[0:1] op_sel_hi:[1,0]
	v_accvgpr_read_b32 v13, a15
	s_waitcnt lgkmcnt(0)
	v_pk_add_f32 v[18:19], v[8:9], v[14:15]
	s_nop 0
	v_pk_add_f32 v[130:131], v[18:19], v[16:17]
	v_pk_add_f32 v[18:19], v[14:15], v[16:17]
	v_pk_add_f32 v[14:15], v[14:15], v[16:17] neg_lo:[0,1] neg_hi:[0,1]
	v_pk_fma_f32 v[8:9], v[18:19], 0.5, v[8:9] op_sel_hi:[1,0,1] neg_lo:[1,0,0] neg_hi:[1,0,0]
	v_pk_mul_f32 v[14:15], v[14:15], s[0:1] op_sel_hi:[1,0]
	ds_read2_b64 v[18:21], v7 offset0:70 offset1:169
	v_pk_add_f32 v[132:133], v[8:9], v[14:15] op_sel:[0,1] op_sel_hi:[1,0] neg_lo:[0,1] neg_hi:[0,1]
	v_pk_add_f32 v[8:9], v[8:9], v[14:15] op_sel:[0,1] op_sel_hi:[1,0]
	ds_read2_b64 v[14:17], v4 offset0:140 offset1:239
	v_mov_b32_e32 v134, v132
	v_mov_b32_e32 v135, v9
	s_waitcnt lgkmcnt(0)
	s_barrier
	v_pk_fma_f32 v[0:1], v[0:1], 0.5, v[16:17] op_sel_hi:[1,0,1] neg_lo:[1,0,0] neg_hi:[1,0,0]
	ds_write2_b64 v29, v[130:131], v[134:135] offset1:11
	v_pk_add_f32 v[130:131], v[0:1], v[94:95] op_sel:[0,1] op_sel_hi:[1,0]
	v_pk_add_f32 v[0:1], v[0:1], v[94:95] op_sel:[0,1] op_sel_hi:[1,0] neg_lo:[0,1] neg_hi:[0,1]
	v_pk_add_f32 v[94:95], v[96:97], v[88:89] neg_lo:[0,1] neg_hi:[0,1]
	v_pk_fma_f32 v[92:93], v[92:93], 0.5, v[14:15] op_sel_hi:[1,0,1] neg_lo:[1,0,0] neg_hi:[1,0,0]
	v_pk_mul_f32 v[94:95], v[94:95], s[0:1] op_sel_hi:[1,0]
	v_pk_fma_f32 v[22:23], v[22:23], 0.5, v[20:21] op_sel_hi:[1,0,1] neg_lo:[1,0,0] neg_hi:[1,0,0]
	v_pk_add_f32 v[134:135], v[92:93], v[94:95] op_sel:[0,1] op_sel_hi:[1,0]
	v_pk_add_f32 v[92:93], v[92:93], v[94:95] op_sel:[0,1] op_sel_hi:[1,0] neg_lo:[0,1] neg_hi:[0,1]
	v_pk_add_f32 v[94:95], v[98:99], v[106:107] neg_lo:[0,1] neg_hi:[0,1]
	v_mov_b32_e32 v9, v133
	v_pk_mul_f32 v[94:95], v[94:95], s[0:1] op_sel_hi:[1,0]
	ds_write_b64 v29, v[8:9] offset:176
	v_pk_add_f32 v[100:101], v[22:23], v[94:95] op_sel:[0,1] op_sel_hi:[1,0]
	v_pk_add_f32 v[22:23], v[22:23], v[94:95] op_sel:[0,1] op_sel_hi:[1,0] neg_lo:[0,1] neg_hi:[0,1]
	v_pk_add_f32 v[94:95], v[102:103], v[122:123]
	v_pk_add_f32 v[8:9], v[24:25], v[26:27]
	v_pk_fma_f32 v[94:95], v[94:95], 0.5, v[18:19] op_sel_hi:[1,0,1] neg_lo:[1,0,0] neg_hi:[1,0,0]
	v_pk_fma_f32 v[8:9], v[8:9], 0.5, v[10:11] op_sel_hi:[1,0,1] neg_lo:[1,0,0] neg_hi:[1,0,0]
	v_pk_add_f32 v[124:125], v[94:95], v[104:105] op_sel:[0,1] op_sel_hi:[1,0]
	v_pk_add_f32 v[94:95], v[94:95], v[104:105] op_sel:[0,1] op_sel_hi:[1,0] neg_lo:[0,1] neg_hi:[0,1]
	v_pk_add_f32 v[104:105], v[10:11], v[24:25]
	v_pk_add_f32 v[10:11], v[24:25], v[26:27] neg_lo:[0,1] neg_hi:[0,1]
	v_pk_add_f32 v[104:105], v[104:105], v[26:27]
	v_pk_mul_f32 v[10:11], v[10:11], s[0:1] op_sel_hi:[1,0]
	s_nop 0
	v_pk_add_f32 v[24:25], v[8:9], v[10:11] op_sel:[0,1] op_sel_hi:[1,0] neg_lo:[0,1] neg_hi:[0,1]
	v_pk_add_f32 v[8:9], v[8:9], v[10:11] op_sel:[0,1] op_sel_hi:[1,0]
	v_mov_b32_e32 v10, v24
	v_mov_b32_e32 v11, v9
	;; [unrolled: 1-line block ×3, first 2 shown]
	ds_write_b64 v13, v[8:9] offset:176
	v_pk_add_f32 v[8:9], v[18:19], v[102:103]
	ds_write2_b64 v13, v[104:105], v[10:11] offset1:11
	v_pk_add_f32 v[8:9], v[8:9], v[122:123]
	v_mov_b32_e32 v10, v94
	v_mov_b32_e32 v11, v125
	v_accvgpr_read_b32 v13, a7
	ds_write2_b64 v13, v[8:9], v[10:11] offset1:11
	v_pk_add_f32 v[8:9], v[20:21], v[98:99]
	v_mov_b32_e32 v125, v95
	v_pk_add_f32 v[8:9], v[8:9], v[106:107]
	v_mov_b32_e32 v10, v22
	v_mov_b32_e32 v11, v101
	ds_write_b64 v13, v[124:125] offset:176
	ds_write2_b64 v173, v[8:9], v[10:11] offset1:11
	v_pk_add_f32 v[8:9], v[14:15], v[96:97]
	v_mov_b32_e32 v101, v23
	v_pk_add_f32 v[8:9], v[8:9], v[88:89]
	v_mov_b32_e32 v10, v92
	v_mov_b32_e32 v11, v135
	ds_write_b64 v173, v[100:101] offset:176
	ds_write2_b64 v171, v[8:9], v[10:11] offset1:11
	v_pk_add_f32 v[8:9], v[16:17], v[30:31]
	v_mov_b32_e32 v135, v93
	v_pk_add_f32 v[8:9], v[8:9], v[90:91]
	v_mov_b32_e32 v10, v0
	v_mov_b32_e32 v11, v131
	v_mov_b32_e32 v131, v1
	ds_write_b64 v171, v[134:135] offset:176
	ds_write2_b64 v170, v[8:9], v[10:11] offset1:11
	ds_write_b64 v170, v[130:131] offset:176
	s_waitcnt lgkmcnt(0)
	s_barrier
	ds_read2_b64 v[8:11], v2 offset0:94 offset1:193
	ds_read2_b64 v[14:17], v4 offset0:140 offset1:239
	;; [unrolled: 1-line block ×3, first 2 shown]
	v_accvgpr_read_b32 v93, a69
	v_accvgpr_read_b32 v92, a68
	s_waitcnt lgkmcnt(2)
	v_pk_mul_f32 v[0:1], v[52:53], v[10:11]
	v_accvgpr_read_b32 v13, a41
	v_pk_fma_f32 v[26:27], v[182:183], v[10:11], v[0:1] op_sel:[0,0,1] op_sel_hi:[1,1,0]
	v_pk_fma_f32 v[0:1], v[182:183], v[10:11], v[0:1] op_sel:[0,0,1] op_sel_hi:[1,1,0] neg_lo:[0,0,1] neg_hi:[0,0,1]
	s_nop 0
	v_mov_b32_e32 v27, v1
	s_waitcnt lgkmcnt(0)
	v_pk_mul_f32 v[0:1], v[54:55], v[20:21]
	s_nop 0
	v_pk_fma_f32 v[30:31], v[180:181], v[20:21], v[0:1] op_sel:[0,0,1] op_sel_hi:[1,1,0]
	v_pk_fma_f32 v[0:1], v[180:181], v[20:21], v[0:1] op_sel:[0,0,1] op_sel_hi:[1,1,0] neg_lo:[0,0,1] neg_hi:[0,0,1]
	s_nop 0
	v_mov_b32_e32 v31, v1
	v_pk_add_f32 v[0:1], v[26:27], v[30:31]
	v_pk_add_f32 v[10:11], v[26:27], v[30:31] neg_lo:[0,1] neg_hi:[0,1]
	v_pk_fma_f32 v[0:1], v[0:1], 0.5, v[16:17] op_sel_hi:[1,0,1] neg_lo:[1,0,0] neg_hi:[1,0,0]
	v_pk_mul_f32 v[10:11], v[10:11], s[0:1] op_sel_hi:[1,0]
	s_nop 0
	v_pk_add_f32 v[52:53], v[0:1], v[10:11] op_sel:[0,1] op_sel_hi:[1,0]
	v_pk_add_f32 v[0:1], v[0:1], v[10:11] op_sel:[0,1] op_sel_hi:[1,0] neg_lo:[0,1] neg_hi:[0,1]
	v_pk_mul_f32 v[10:11], v[48:49], v[8:9]
	s_nop 0
	v_pk_fma_f32 v[48:49], v[178:179], v[8:9], v[10:11] op_sel:[0,0,1] op_sel_hi:[1,1,0]
	v_pk_fma_f32 v[8:9], v[178:179], v[8:9], v[10:11] op_sel:[0,0,1] op_sel_hi:[1,1,0] neg_lo:[0,0,1] neg_hi:[0,0,1]
	v_accvgpr_read_b32 v10, a72
	v_mov_b32_e32 v49, v9
	v_pk_mul_f32 v[8:9], v[50:51], v[18:19]
	v_accvgpr_read_b32 v11, a73
	v_pk_fma_f32 v[50:51], v[10:11], v[18:19], v[8:9] op_sel:[0,0,1] op_sel_hi:[1,1,0]
	v_pk_fma_f32 v[8:9], v[10:11], v[18:19], v[8:9] op_sel:[0,0,1] op_sel_hi:[1,1,0] neg_lo:[0,0,1] neg_hi:[0,0,1]
	s_nop 0
	v_mov_b32_e32 v51, v9
	v_pk_add_f32 v[8:9], v[48:49], v[50:51]
	s_nop 0
	v_pk_fma_f32 v[18:19], v[8:9], 0.5, v[14:15] op_sel_hi:[1,0,1] neg_lo:[1,0,0] neg_hi:[1,0,0]
	v_pk_add_f32 v[8:9], v[48:49], v[50:51] neg_lo:[0,1] neg_hi:[0,1]
	s_nop 0
	v_pk_mul_f32 v[20:21], v[8:9], s[0:1] op_sel_hi:[1,0]
	ds_read2_b64 v[8:11], v12 offset0:24 offset1:123
	v_pk_add_f32 v[54:55], v[18:19], v[20:21] op_sel:[0,1] op_sel_hi:[1,0]
	v_pk_add_f32 v[88:89], v[18:19], v[20:21] op_sel:[0,1] op_sel_hi:[1,0] neg_lo:[0,1] neg_hi:[0,1]
	ds_read2_b64 v[18:21], v7 offset0:70 offset1:169
	ds_read2_b64 v[22:25], v3 offset0:106 offset1:205
	s_waitcnt lgkmcnt(2)
	v_pk_mul_f32 v[44:45], v[44:45], v[10:11]
	s_nop 0
	v_pk_fma_f32 v[90:91], v[92:93], v[10:11], v[44:45] op_sel:[0,0,1] op_sel_hi:[1,1,0]
	v_pk_fma_f32 v[10:11], v[92:93], v[10:11], v[44:45] op_sel:[0,0,1] op_sel_hi:[1,1,0] neg_lo:[0,0,1] neg_hi:[0,0,1]
	s_nop 0
	v_mov_b32_e32 v91, v11
	s_waitcnt lgkmcnt(0)
	v_pk_mul_f32 v[10:11], v[46:47], v[24:25]
	v_accvgpr_read_b32 v46, a64
	v_accvgpr_read_b32 v47, a65
	v_pk_fma_f32 v[44:45], v[46:47], v[24:25], v[10:11] op_sel:[0,0,1] op_sel_hi:[1,1,0]
	v_pk_fma_f32 v[10:11], v[46:47], v[24:25], v[10:11] op_sel:[0,0,1] op_sel_hi:[1,1,0] neg_lo:[0,0,1] neg_hi:[0,0,1]
	s_nop 0
	v_mov_b32_e32 v45, v11
	v_pk_add_f32 v[10:11], v[90:91], v[44:45]
	v_pk_add_f32 v[24:25], v[90:91], v[44:45] neg_lo:[0,1] neg_hi:[0,1]
	v_pk_fma_f32 v[10:11], v[10:11], 0.5, v[20:21] op_sel_hi:[1,0,1] neg_lo:[1,0,0] neg_hi:[1,0,0]
	v_pk_mul_f32 v[24:25], v[24:25], s[0:1] op_sel_hi:[1,0]
	s_nop 0
	v_pk_add_f32 v[46:47], v[10:11], v[24:25] op_sel:[0,1] op_sel_hi:[1,0]
	v_pk_add_f32 v[92:93], v[10:11], v[24:25] op_sel:[0,1] op_sel_hi:[1,0] neg_lo:[0,1] neg_hi:[0,1]
	v_accvgpr_read_b32 v24, a62
	v_pk_mul_f32 v[10:11], v[40:41], v[8:9]
	v_accvgpr_read_b32 v25, a63
	v_pk_fma_f32 v[94:95], v[24:25], v[8:9], v[10:11] op_sel:[0,0,1] op_sel_hi:[1,1,0]
	v_pk_fma_f32 v[8:9], v[24:25], v[8:9], v[10:11] op_sel:[0,0,1] op_sel_hi:[1,1,0] neg_lo:[0,0,1] neg_hi:[0,0,1]
	s_nop 0
	v_mov_b32_e32 v95, v9
	v_pk_mul_f32 v[8:9], v[42:43], v[22:23]
	s_nop 0
	v_pk_fma_f32 v[96:97], v[244:245], v[22:23], v[8:9] op_sel:[0,0,1] op_sel_hi:[1,1,0]
	v_pk_fma_f32 v[8:9], v[244:245], v[22:23], v[8:9] op_sel:[0,0,1] op_sel_hi:[1,1,0] neg_lo:[0,0,1] neg_hi:[0,0,1]
	s_nop 0
	v_mov_b32_e32 v97, v9
	v_pk_add_f32 v[8:9], v[94:95], v[96:97]
	s_nop 0
	v_pk_fma_f32 v[22:23], v[8:9], 0.5, v[18:19] op_sel_hi:[1,0,1] neg_lo:[1,0,0] neg_hi:[1,0,0]
	v_pk_add_f32 v[8:9], v[94:95], v[96:97] neg_lo:[0,1] neg_hi:[0,1]
	s_nop 0
	v_pk_mul_f32 v[24:25], v[8:9], s[0:1] op_sel_hi:[1,0]
	ds_read2_b64 v[8:11], v5 offset0:82 offset1:181
	v_pk_add_f32 v[98:99], v[22:23], v[24:25] op_sel:[0,1] op_sel_hi:[1,0]
	v_pk_add_f32 v[100:101], v[22:23], v[24:25] op_sel:[0,1] op_sel_hi:[1,0] neg_lo:[0,1] neg_hi:[0,1]
	ds_read2_b64 v[22:25], v120 offset1:99
	ds_read2_b64 v[40:43], v6 offset0:36 offset1:135
	s_waitcnt lgkmcnt(0)
	v_pk_mul_f32 v[36:37], v[36:37], v[10:11]
	v_pk_mul_f32 v[32:33], v[32:33], v[8:9]
	v_pk_fma_f32 v[102:103], v[240:241], v[10:11], v[36:37] op_sel:[0,0,1] op_sel_hi:[1,1,0]
	v_pk_fma_f32 v[10:11], v[240:241], v[10:11], v[36:37] op_sel:[0,0,1] op_sel_hi:[1,1,0] neg_lo:[0,0,1] neg_hi:[0,0,1]
	s_barrier
	v_mov_b32_e32 v103, v11
	v_pk_mul_f32 v[10:11], v[38:39], v[42:43]
	v_pk_fma_f32 v[38:39], v[242:243], v[8:9], v[32:33] op_sel:[0,0,1] op_sel_hi:[1,1,0]
	v_pk_fma_f32 v[8:9], v[242:243], v[8:9], v[32:33] op_sel:[0,0,1] op_sel_hi:[1,1,0] neg_lo:[0,0,1] neg_hi:[0,0,1]
	v_pk_fma_f32 v[36:37], v[238:239], v[42:43], v[10:11] op_sel:[0,0,1] op_sel_hi:[1,1,0]
	v_mov_b32_e32 v39, v9
	v_pk_mul_f32 v[8:9], v[34:35], v[40:41]
	v_pk_fma_f32 v[10:11], v[238:239], v[42:43], v[10:11] op_sel:[0,0,1] op_sel_hi:[1,1,0] neg_lo:[0,0,1] neg_hi:[0,0,1]
	v_pk_fma_f32 v[32:33], v[246:247], v[40:41], v[8:9] op_sel:[0,0,1] op_sel_hi:[1,1,0]
	v_pk_fma_f32 v[8:9], v[246:247], v[40:41], v[8:9] op_sel:[0,0,1] op_sel_hi:[1,1,0] neg_lo:[0,0,1] neg_hi:[0,0,1]
	v_mov_b32_e32 v37, v11
	v_mov_b32_e32 v33, v9
	v_pk_add_f32 v[8:9], v[22:23], v[38:39]
	v_pk_add_f32 v[34:35], v[38:39], v[32:33]
	;; [unrolled: 1-line block ×3, first 2 shown]
	v_pk_add_f32 v[32:33], v[38:39], v[32:33] neg_lo:[0,1] neg_hi:[0,1]
	v_pk_fma_f32 v[22:23], v[34:35], 0.5, v[22:23] op_sel_hi:[1,0,1] neg_lo:[1,0,0] neg_hi:[1,0,0]
	v_pk_mul_f32 v[32:33], v[32:33], s[0:1] op_sel_hi:[1,0]
	s_nop 0
	v_pk_add_f32 v[34:35], v[22:23], v[32:33] op_sel:[0,1] op_sel_hi:[1,0] neg_lo:[0,1] neg_hi:[0,1]
	v_pk_add_f32 v[22:23], v[22:23], v[32:33] op_sel:[0,1] op_sel_hi:[1,0]
	v_mov_b32_e32 v32, v34
	v_mov_b32_e32 v33, v23
	;; [unrolled: 1-line block ×3, first 2 shown]
	ds_write2_b64 v13, v[8:9], v[32:33] offset1:33
	ds_write_b64 v13, v[22:23] offset:528
	v_pk_add_f32 v[8:9], v[102:103], v[36:37]
	v_pk_add_f32 v[22:23], v[102:103], v[36:37] neg_lo:[0,1] neg_hi:[0,1]
	v_pk_fma_f32 v[8:9], v[8:9], 0.5, v[24:25] op_sel_hi:[1,0,1] neg_lo:[1,0,0] neg_hi:[1,0,0]
	v_pk_mul_f32 v[22:23], v[22:23], s[0:1] op_sel_hi:[1,0]
	v_pk_add_f32 v[10:11], v[24:25], v[102:103]
	v_pk_add_f32 v[24:25], v[8:9], v[22:23] op_sel:[0,1] op_sel_hi:[1,0] neg_lo:[0,1] neg_hi:[0,1]
	v_pk_add_f32 v[8:9], v[8:9], v[22:23] op_sel:[0,1] op_sel_hi:[1,0]
	v_accvgpr_read_b32 v13, a40
	v_mov_b32_e32 v23, v9
	v_mov_b32_e32 v9, v25
	v_pk_add_f32 v[10:11], v[10:11], v[36:37]
	v_mov_b32_e32 v22, v24
	ds_write_b64 v13, v[8:9] offset:528
	v_pk_add_f32 v[8:9], v[18:19], v[94:95]
	ds_write2_b64 v13, v[10:11], v[22:23] offset1:33
	v_pk_add_f32 v[8:9], v[8:9], v[96:97]
	v_mov_b32_e32 v10, v100
	v_mov_b32_e32 v11, v99
	v_accvgpr_read_b32 v13, a38
	ds_write2_b64 v13, v[8:9], v[10:11] offset1:33
	v_mov_b32_e32 v99, v101
	v_pk_add_f32 v[8:9], v[20:21], v[90:91]
	ds_write_b64 v13, v[98:99] offset:528
	v_pk_add_f32 v[8:9], v[8:9], v[44:45]
	v_mov_b32_e32 v10, v92
	v_mov_b32_e32 v11, v47
	v_accvgpr_read_b32 v13, a31
	ds_write2_b64 v13, v[8:9], v[10:11] offset1:33
	v_mov_b32_e32 v47, v93
	v_pk_add_f32 v[8:9], v[14:15], v[48:49]
	ds_write_b64 v13, v[46:47] offset:528
	v_pk_add_f32 v[8:9], v[8:9], v[50:51]
	v_mov_b32_e32 v10, v88
	v_mov_b32_e32 v11, v55
	v_accvgpr_read_b32 v13, a30
	ds_write2_b64 v13, v[8:9], v[10:11] offset1:33
	v_pk_add_f32 v[8:9], v[16:17], v[26:27]
	v_mov_b32_e32 v55, v89
	v_pk_add_f32 v[8:9], v[8:9], v[30:31]
	v_mov_b32_e32 v10, v0
	v_mov_b32_e32 v11, v53
	v_accvgpr_read_b32 v0, a29
	v_mov_b32_e32 v53, v1
	ds_write_b64 v13, v[54:55] offset:528
	ds_write2_b64 v0, v[8:9], v[10:11] offset1:33
	ds_write_b64 v0, v[52:53] offset:528
	s_waitcnt lgkmcnt(0)
	s_barrier
	ds_read2_b64 v[8:11], v5 offset0:82 offset1:181
	ds_read2_b64 v[14:17], v120 offset1:99
	ds_read2_b64 v[18:21], v6 offset0:36 offset1:135
	v_accvgpr_read_b32 v13, a45
	s_waitcnt lgkmcnt(2)
	v_pk_mul_f32 v[0:1], v[56:57], v[8:9]
	s_nop 0
	v_pk_fma_f32 v[22:23], v[234:235], v[8:9], v[0:1] op_sel:[0,0,1] op_sel_hi:[1,1,0]
	v_pk_fma_f32 v[0:1], v[234:235], v[8:9], v[0:1] op_sel:[0,0,1] op_sel_hi:[1,1,0] neg_lo:[0,0,1] neg_hi:[0,0,1]
	s_nop 0
	v_mov_b32_e32 v23, v1
	s_waitcnt lgkmcnt(0)
	v_pk_mul_f32 v[0:1], v[58:59], v[18:19]
	s_nop 0
	v_pk_fma_f32 v[8:9], v[236:237], v[18:19], v[0:1] op_sel:[0,0,1] op_sel_hi:[1,1,0]
	v_pk_fma_f32 v[0:1], v[236:237], v[18:19], v[0:1] op_sel:[0,0,1] op_sel_hi:[1,1,0] neg_lo:[0,0,1] neg_hi:[0,0,1]
	s_nop 0
	v_mov_b32_e32 v9, v1
	v_pk_add_f32 v[0:1], v[14:15], v[22:23]
	v_pk_add_f32 v[18:19], v[22:23], v[8:9]
	;; [unrolled: 1-line block ×3, first 2 shown]
	v_pk_add_f32 v[8:9], v[22:23], v[8:9] neg_lo:[0,1] neg_hi:[0,1]
	v_pk_fma_f32 v[14:15], v[18:19], 0.5, v[14:15] op_sel_hi:[1,0,1] neg_lo:[1,0,0] neg_hi:[1,0,0]
	v_pk_mul_f32 v[8:9], v[8:9], s[0:1] op_sel_hi:[1,0]
	s_nop 0
	v_pk_add_f32 v[26:27], v[14:15], v[8:9] op_sel:[0,1] op_sel_hi:[1,0] neg_lo:[0,1] neg_hi:[0,1]
	v_pk_add_f32 v[14:15], v[14:15], v[8:9] op_sel:[0,1] op_sel_hi:[1,0]
	v_pk_mul_f32 v[8:9], v[56:57], v[10:11]
	s_nop 0
	v_pk_fma_f32 v[34:35], v[234:235], v[10:11], v[8:9] op_sel:[0,0,1] op_sel_hi:[1,1,0]
	v_pk_fma_f32 v[8:9], v[234:235], v[10:11], v[8:9] op_sel:[0,0,1] op_sel_hi:[1,1,0] neg_lo:[0,0,1] neg_hi:[0,0,1]
	s_nop 0
	v_mov_b32_e32 v35, v9
	v_pk_mul_f32 v[8:9], v[58:59], v[20:21]
	s_nop 0
	v_pk_fma_f32 v[36:37], v[236:237], v[20:21], v[8:9] op_sel:[0,0,1] op_sel_hi:[1,1,0]
	v_pk_fma_f32 v[8:9], v[236:237], v[20:21], v[8:9] op_sel:[0,0,1] op_sel_hi:[1,1,0] neg_lo:[0,0,1] neg_hi:[0,0,1]
	s_nop 0
	v_mov_b32_e32 v37, v9
	v_pk_add_f32 v[8:9], v[34:35], v[36:37]
	s_nop 0
	v_pk_fma_f32 v[18:19], v[8:9], 0.5, v[16:17] op_sel_hi:[1,0,1] neg_lo:[1,0,0] neg_hi:[1,0,0]
	v_pk_add_f32 v[8:9], v[34:35], v[36:37] neg_lo:[0,1] neg_hi:[0,1]
	s_nop 0
	v_pk_mul_f32 v[20:21], v[8:9], s[0:1] op_sel_hi:[1,0]
	ds_read2_b64 v[8:11], v2 offset0:94 offset1:193
	v_pk_add_f32 v[38:39], v[18:19], v[20:21] op_sel:[0,1] op_sel_hi:[1,0]
	v_pk_add_f32 v[40:41], v[18:19], v[20:21] op_sel:[0,1] op_sel_hi:[1,0] neg_lo:[0,1] neg_hi:[0,1]
	ds_read2_b64 v[18:21], v4 offset0:140 offset1:239
	ds_read2_b64 v[22:25], v28 offset0:48 offset1:147
	s_waitcnt lgkmcnt(2)
	v_pk_mul_f32 v[30:31], v[72:73], v[10:11]
	s_nop 0
	v_pk_fma_f32 v[42:43], v[228:229], v[10:11], v[30:31] op_sel:[0,0,1] op_sel_hi:[1,1,0]
	v_pk_fma_f32 v[10:11], v[228:229], v[10:11], v[30:31] op_sel:[0,0,1] op_sel_hi:[1,1,0] neg_lo:[0,0,1] neg_hi:[0,0,1]
	s_nop 0
	v_mov_b32_e32 v43, v11
	s_waitcnt lgkmcnt(0)
	v_pk_mul_f32 v[10:11], v[74:75], v[24:25]
	s_nop 0
	v_pk_fma_f32 v[44:45], v[232:233], v[24:25], v[10:11] op_sel:[0,0,1] op_sel_hi:[1,1,0]
	v_pk_fma_f32 v[10:11], v[232:233], v[24:25], v[10:11] op_sel:[0,0,1] op_sel_hi:[1,1,0] neg_lo:[0,0,1] neg_hi:[0,0,1]
	s_nop 0
	v_mov_b32_e32 v45, v11
	v_pk_add_f32 v[10:11], v[42:43], v[44:45]
	v_pk_add_f32 v[24:25], v[42:43], v[44:45] neg_lo:[0,1] neg_hi:[0,1]
	v_pk_fma_f32 v[10:11], v[10:11], 0.5, v[20:21] op_sel_hi:[1,0,1] neg_lo:[1,0,0] neg_hi:[1,0,0]
	v_pk_mul_f32 v[24:25], v[24:25], s[0:1] op_sel_hi:[1,0]
	s_nop 0
	v_pk_add_f32 v[46:47], v[10:11], v[24:25] op_sel:[0,1] op_sel_hi:[1,0]
	v_pk_add_f32 v[48:49], v[10:11], v[24:25] op_sel:[0,1] op_sel_hi:[1,0] neg_lo:[0,1] neg_hi:[0,1]
	v_pk_mul_f32 v[10:11], v[68:69], v[8:9]
	s_nop 0
	v_pk_fma_f32 v[50:51], v[226:227], v[8:9], v[10:11] op_sel:[0,0,1] op_sel_hi:[1,1,0]
	v_pk_fma_f32 v[8:9], v[226:227], v[8:9], v[10:11] op_sel:[0,0,1] op_sel_hi:[1,1,0] neg_lo:[0,0,1] neg_hi:[0,0,1]
	s_nop 0
	v_mov_b32_e32 v51, v9
	v_pk_mul_f32 v[8:9], v[70:71], v[22:23]
	s_nop 0
	v_pk_fma_f32 v[52:53], v[230:231], v[22:23], v[8:9] op_sel:[0,0,1] op_sel_hi:[1,1,0]
	v_pk_fma_f32 v[8:9], v[230:231], v[22:23], v[8:9] op_sel:[0,0,1] op_sel_hi:[1,1,0] neg_lo:[0,0,1] neg_hi:[0,0,1]
	s_nop 0
	v_mov_b32_e32 v53, v9
	v_pk_add_f32 v[8:9], v[50:51], v[52:53]
	s_nop 0
	v_pk_fma_f32 v[22:23], v[8:9], 0.5, v[18:19] op_sel_hi:[1,0,1] neg_lo:[1,0,0] neg_hi:[1,0,0]
	v_pk_add_f32 v[8:9], v[50:51], v[52:53] neg_lo:[0,1] neg_hi:[0,1]
	s_nop 0
	v_pk_mul_f32 v[24:25], v[8:9], s[0:1] op_sel_hi:[1,0]
	ds_read2_b64 v[8:11], v12 offset0:24 offset1:123
	v_pk_add_f32 v[54:55], v[22:23], v[24:25] op_sel:[0,1] op_sel_hi:[1,0]
	v_pk_add_f32 v[56:57], v[22:23], v[24:25] op_sel:[0,1] op_sel_hi:[1,0] neg_lo:[0,1] neg_hi:[0,1]
	ds_read2_b64 v[22:25], v7 offset0:70 offset1:169
	ds_read2_b64 v[30:33], v3 offset0:106 offset1:205
	s_waitcnt lgkmcnt(0)
	v_pk_mul_f32 v[58:59], v[64:65], v[10:11]
	s_barrier
	v_pk_fma_f32 v[64:65], v[218:219], v[10:11], v[58:59] op_sel:[0,0,1] op_sel_hi:[1,1,0]
	v_pk_fma_f32 v[10:11], v[218:219], v[10:11], v[58:59] op_sel:[0,0,1] op_sel_hi:[1,1,0] neg_lo:[0,0,1] neg_hi:[0,0,1]
	s_nop 0
	v_mov_b32_e32 v65, v11
	v_pk_mul_f32 v[10:11], v[66:67], v[32:33]
	s_nop 0
	v_pk_fma_f32 v[58:59], v[222:223], v[32:33], v[10:11] op_sel:[0,0,1] op_sel_hi:[1,1,0]
	v_pk_fma_f32 v[10:11], v[222:223], v[32:33], v[10:11] op_sel:[0,0,1] op_sel_hi:[1,1,0] neg_lo:[0,0,1] neg_hi:[0,0,1]
	s_nop 0
	v_mov_b32_e32 v59, v11
	v_pk_add_f32 v[10:11], v[64:65], v[58:59]
	v_pk_add_f32 v[32:33], v[64:65], v[58:59] neg_lo:[0,1] neg_hi:[0,1]
	v_pk_fma_f32 v[10:11], v[10:11], 0.5, v[24:25] op_sel_hi:[1,0,1] neg_lo:[1,0,0] neg_hi:[1,0,0]
	v_pk_mul_f32 v[32:33], v[32:33], s[0:1] op_sel_hi:[1,0]
	s_nop 0
	v_pk_add_f32 v[66:67], v[10:11], v[32:33] op_sel:[0,1] op_sel_hi:[1,0]
	v_pk_add_f32 v[10:11], v[10:11], v[32:33] op_sel:[0,1] op_sel_hi:[1,0] neg_lo:[0,1] neg_hi:[0,1]
	v_pk_mul_f32 v[32:33], v[60:61], v[8:9]
	s_nop 0
	v_pk_fma_f32 v[60:61], v[220:221], v[8:9], v[32:33] op_sel:[0,0,1] op_sel_hi:[1,1,0]
	v_pk_fma_f32 v[8:9], v[220:221], v[8:9], v[32:33] op_sel:[0,0,1] op_sel_hi:[1,1,0] neg_lo:[0,0,1] neg_hi:[0,0,1]
	s_nop 0
	v_mov_b32_e32 v61, v9
	v_pk_mul_f32 v[8:9], v[62:63], v[30:31]
	s_nop 0
	v_pk_fma_f32 v[32:33], v[224:225], v[30:31], v[8:9] op_sel:[0,0,1] op_sel_hi:[1,1,0]
	v_pk_fma_f32 v[8:9], v[224:225], v[30:31], v[8:9] op_sel:[0,0,1] op_sel_hi:[1,1,0] neg_lo:[0,0,1] neg_hi:[0,0,1]
	s_nop 0
	v_mov_b32_e32 v33, v9
	v_pk_add_f32 v[8:9], v[60:61], v[32:33]
	v_pk_add_f32 v[30:31], v[60:61], v[32:33] neg_lo:[0,1] neg_hi:[0,1]
	v_pk_fma_f32 v[8:9], v[8:9], 0.5, v[22:23] op_sel_hi:[1,0,1] neg_lo:[1,0,0] neg_hi:[1,0,0]
	v_pk_mul_f32 v[30:31], v[30:31], s[0:1] op_sel_hi:[1,0]
	s_nop 0
	v_pk_add_f32 v[62:63], v[8:9], v[30:31] op_sel:[0,1] op_sel_hi:[1,0]
	v_pk_add_f32 v[8:9], v[8:9], v[30:31] op_sel:[0,1] op_sel_hi:[1,0] neg_lo:[0,1] neg_hi:[0,1]
	v_mov_b32_e32 v30, v26
	v_mov_b32_e32 v31, v15
	ds_write2_b64 v120, v[0:1], v[30:31] offset1:99
	v_pk_add_f32 v[0:1], v[16:17], v[34:35]
	v_mov_b32_e32 v15, v27
	v_pk_add_f32 v[0:1], v[0:1], v[36:37]
	ds_write2_b64 v7, v[14:15], v[0:1] offset0:70 offset1:169
	v_mov_b32_e32 v0, v40
	v_mov_b32_e32 v1, v39
	;; [unrolled: 1-line block ×3, first 2 shown]
	ds_write2_b64 v4, v[0:1], v[38:39] offset0:140 offset1:239
	v_pk_add_f32 v[0:1], v[22:23], v[60:61]
	v_mov_b32_e32 v14, v8
	v_pk_add_f32 v[0:1], v[0:1], v[32:33]
	v_mov_b32_e32 v15, v63
	v_add_u32_e32 v8, 0x1000, v13
	v_mov_b32_e32 v63, v9
	ds_write2_b64 v8, v[0:1], v[14:15] offset0:82 offset1:181
	ds_write_b64 v13, v[62:63] offset:6336
	v_pk_add_f32 v[0:1], v[24:25], v[64:65]
	v_accvgpr_read_b32 v13, a44
	v_pk_add_f32 v[0:1], v[0:1], v[58:59]
	v_mov_b32_e32 v8, v10
	v_mov_b32_e32 v9, v67
	v_add_u32_e32 v10, 0x1800, v13
	ds_write2_b64 v10, v[0:1], v[8:9] offset0:123 offset1:222
	v_mov_b32_e32 v67, v11
	v_pk_add_f32 v[0:1], v[18:19], v[50:51]
	v_accvgpr_read_b32 v11, a43
	v_pk_add_f32 v[0:1], v[0:1], v[52:53]
	v_mov_b32_e32 v8, v56
	v_mov_b32_e32 v9, v55
	v_add_u32_e32 v10, 0x2400, v11
	v_mov_b32_e32 v55, v57
	ds_write2_b64 v10, v[0:1], v[8:9] offset0:36 offset1:135
	ds_write_b64 v11, v[54:55] offset:11088
	v_pk_add_f32 v[0:1], v[20:21], v[42:43]
	v_accvgpr_read_b32 v11, a42
	v_pk_add_f32 v[0:1], v[0:1], v[44:45]
	v_mov_b32_e32 v8, v48
	v_mov_b32_e32 v9, v47
	v_add_u32_e32 v10, 0x2c00, v11
	v_mov_b32_e32 v47, v49
	ds_write_b64 v13, v[66:67] offset:8712
	ds_write2_b64 v10, v[0:1], v[8:9] offset0:77 offset1:176
	ds_write_b64 v11, v[46:47] offset:13464
	s_waitcnt lgkmcnt(0)
	s_barrier
	ds_read2_b64 v[8:11], v12 offset0:24 offset1:123
	ds_read2_b64 v[14:17], v7 offset0:70 offset1:169
	ds_read2_b64 v[18:21], v3 offset0:106 offset1:205
	v_mov_b32_e32 v0, s2
	v_mov_b32_e32 v1, s3
	s_waitcnt lgkmcnt(2)
	v_pk_mul_f32 v[22:23], v[84:85], v[8:9]
	s_nop 0
	v_pk_fma_f32 v[26:27], v[190:191], v[8:9], v[22:23] op_sel:[0,0,1] op_sel_hi:[1,1,0]
	v_pk_fma_f32 v[8:9], v[190:191], v[8:9], v[22:23] op_sel:[0,0,1] op_sel_hi:[1,1,0] neg_lo:[0,0,1] neg_hi:[0,0,1]
	ds_read2_b64 v[22:25], v5 offset0:82 offset1:181
	v_mov_b32_e32 v27, v9
	s_waitcnt lgkmcnt(1)
	v_pk_mul_f32 v[8:9], v[86:87], v[18:19]
	ds_read2_b64 v[30:33], v120 offset1:99
	ds_read2_b64 v[34:37], v6 offset0:36 offset1:135
	v_pk_fma_f32 v[38:39], v[192:193], v[18:19], v[8:9] op_sel:[0,0,1] op_sel_hi:[1,1,0]
	v_pk_fma_f32 v[8:9], v[192:193], v[18:19], v[8:9] op_sel:[0,0,1] op_sel_hi:[1,1,0] neg_lo:[0,0,1] neg_hi:[0,0,1]
	s_nop 0
	v_mov_b32_e32 v39, v9
	v_pk_add_f32 v[8:9], v[26:27], v[38:39]
	v_pk_add_f32 v[18:19], v[26:27], v[38:39] neg_lo:[0,1] neg_hi:[0,1]
	v_pk_fma_f32 v[8:9], v[8:9], 0.5, v[14:15] op_sel_hi:[1,0,1] neg_lo:[1,0,0] neg_hi:[1,0,0]
	v_pk_mul_f32 v[18:19], v[18:19], s[0:1] op_sel_hi:[1,0]
	v_pk_add_f32 v[14:15], v[14:15], v[26:27]
	v_pk_add_f32 v[40:41], v[8:9], v[18:19] op_sel:[0,1] op_sel_hi:[1,0] neg_lo:[0,1] neg_hi:[0,1]
	v_pk_add_f32 v[8:9], v[8:9], v[18:19] op_sel:[0,1] op_sel_hi:[1,0]
	s_waitcnt lgkmcnt(2)
	v_pk_mul_f32 v[18:19], v[76:77], v[22:23]
	v_pk_add_f32 v[14:15], v[14:15], v[38:39]
	v_pk_fma_f32 v[42:43], v[186:187], v[22:23], v[18:19] op_sel:[0,0,1] op_sel_hi:[1,1,0]
	v_pk_fma_f32 v[18:19], v[186:187], v[22:23], v[18:19] op_sel:[0,0,1] op_sel_hi:[1,1,0] neg_lo:[0,0,1] neg_hi:[0,0,1]
	s_nop 0
	v_mov_b32_e32 v43, v19
	s_waitcnt lgkmcnt(0)
	v_pk_mul_f32 v[18:19], v[78:79], v[34:35]
	s_nop 0
	v_pk_fma_f32 v[22:23], v[188:189], v[34:35], v[18:19] op_sel:[0,0,1] op_sel_hi:[1,1,0]
	v_pk_fma_f32 v[18:19], v[188:189], v[34:35], v[18:19] op_sel:[0,0,1] op_sel_hi:[1,1,0] neg_lo:[0,0,1] neg_hi:[0,0,1]
	v_pk_mul_f32 v[34:35], v[80:81], v[24:25]
	v_mov_b32_e32 v23, v19
	v_pk_fma_f32 v[44:45], v[116:117], v[24:25], v[34:35] op_sel:[0,0,1] op_sel_hi:[1,1,0]
	v_pk_fma_f32 v[24:25], v[116:117], v[24:25], v[34:35] op_sel:[0,0,1] op_sel_hi:[1,1,0] neg_lo:[0,0,1] neg_hi:[0,0,1]
	v_pk_add_f32 v[18:19], v[30:31], v[42:43]
	v_mov_b32_e32 v45, v25
	v_pk_mul_f32 v[24:25], v[82:83], v[36:37]
	v_pk_add_f32 v[18:19], v[18:19], v[22:23]
	v_pk_fma_f32 v[34:35], v[118:119], v[36:37], v[24:25] op_sel:[0,0,1] op_sel_hi:[1,1,0]
	v_pk_fma_f32 v[24:25], v[118:119], v[36:37], v[24:25] op_sel:[0,0,1] op_sel_hi:[1,1,0] neg_lo:[0,0,1] neg_hi:[0,0,1]
	s_nop 0
	v_mov_b32_e32 v35, v25
	v_pk_add_f32 v[24:25], v[32:33], v[44:45]
	s_nop 0
	v_pk_add_f32 v[46:47], v[24:25], v[34:35]
	v_pk_add_f32 v[24:25], v[42:43], v[22:23]
	v_pk_add_f32 v[22:23], v[42:43], v[22:23] neg_lo:[0,1] neg_hi:[0,1]
	v_pk_fma_f32 v[24:25], v[24:25], 0.5, v[30:31] op_sel_hi:[1,0,1] neg_lo:[1,0,0] neg_hi:[1,0,0]
	v_pk_mul_f32 v[22:23], v[22:23], s[0:1] op_sel_hi:[1,0]
	s_nop 0
	v_pk_add_f32 v[42:43], v[24:25], v[22:23] op_sel:[0,1] op_sel_hi:[1,0] neg_lo:[0,1] neg_hi:[0,1]
	v_pk_add_f32 v[48:49], v[24:25], v[22:23] op_sel:[0,1] op_sel_hi:[1,0]
	v_pk_add_f32 v[22:23], v[44:45], v[34:35]
	v_pk_add_f32 v[24:25], v[44:45], v[34:35] neg_lo:[0,1] neg_hi:[0,1]
	v_pk_fma_f32 v[22:23], v[22:23], 0.5, v[32:33] op_sel_hi:[1,0,1] neg_lo:[1,0,0] neg_hi:[1,0,0]
	v_pk_mul_f32 v[24:25], v[24:25], s[0:1] op_sel_hi:[1,0]
	s_nop 0
	v_pk_add_f32 v[44:45], v[22:23], v[24:25] op_sel:[0,1] op_sel_hi:[1,0] neg_lo:[0,1] neg_hi:[0,1]
	v_pk_add_f32 v[50:51], v[22:23], v[24:25] op_sel:[0,1] op_sel_hi:[1,0]
	ds_read2_b64 v[22:25], v2 offset0:94 offset1:193
	ds_read2_b64 v[30:33], v4 offset0:140 offset1:239
	;; [unrolled: 1-line block ×3, first 2 shown]
	s_waitcnt lgkmcnt(0)
	s_barrier
	v_pk_mul_f32 v[26:27], v[84:85], v[24:25]
	ds_write2_b64 v120, v[18:19], v[46:47] offset1:99
	v_pk_fma_f32 v[38:39], v[190:191], v[24:25], v[26:27] op_sel:[0,0,1] op_sel_hi:[1,1,0]
	v_pk_fma_f32 v[24:25], v[190:191], v[24:25], v[26:27] op_sel:[0,0,1] op_sel_hi:[1,1,0] neg_lo:[0,0,1] neg_hi:[0,0,1]
	v_mov_b32_e32 v19, v51
	v_mov_b32_e32 v39, v25
	v_pk_mul_f32 v[24:25], v[86:87], v[36:37]
	v_mov_b32_e32 v51, v45
	v_pk_fma_f32 v[26:27], v[192:193], v[36:37], v[24:25] op_sel:[0,0,1] op_sel_hi:[1,1,0]
	v_pk_fma_f32 v[24:25], v[192:193], v[36:37], v[24:25] op_sel:[0,0,1] op_sel_hi:[1,1,0] neg_lo:[0,0,1] neg_hi:[0,0,1]
	v_mov_b32_e32 v18, v44
	v_mov_b32_e32 v27, v25
	v_pk_add_f32 v[24:25], v[38:39], v[26:27]
	v_pk_add_f32 v[36:37], v[38:39], v[26:27] neg_lo:[0,1] neg_hi:[0,1]
	v_pk_fma_f32 v[24:25], v[24:25], 0.5, v[32:33] op_sel_hi:[1,0,1] neg_lo:[1,0,0] neg_hi:[1,0,0]
	v_pk_mul_f32 v[36:37], v[36:37], s[0:1] op_sel_hi:[1,0]
	s_nop 0
	v_pk_add_f32 v[52:53], v[24:25], v[36:37] op_sel:[0,1] op_sel_hi:[1,0]
	v_pk_add_f32 v[24:25], v[24:25], v[36:37] op_sel:[0,1] op_sel_hi:[1,0] neg_lo:[0,1] neg_hi:[0,1]
	v_pk_mul_f32 v[36:37], v[80:81], v[22:23]
	s_nop 0
	v_pk_fma_f32 v[54:55], v[116:117], v[22:23], v[36:37] op_sel:[0,0,1] op_sel_hi:[1,1,0]
	v_pk_fma_f32 v[22:23], v[116:117], v[22:23], v[36:37] op_sel:[0,0,1] op_sel_hi:[1,1,0] neg_lo:[0,0,1] neg_hi:[0,0,1]
	s_nop 0
	v_mov_b32_e32 v55, v23
	v_pk_mul_f32 v[22:23], v[82:83], v[34:35]
	s_nop 0
	v_pk_fma_f32 v[36:37], v[118:119], v[34:35], v[22:23] op_sel:[0,0,1] op_sel_hi:[1,1,0]
	v_pk_fma_f32 v[22:23], v[118:119], v[34:35], v[22:23] op_sel:[0,0,1] op_sel_hi:[1,1,0] neg_lo:[0,0,1] neg_hi:[0,0,1]
	s_nop 0
	v_mov_b32_e32 v37, v23
	v_pk_add_f32 v[22:23], v[54:55], v[36:37]
	v_pk_add_f32 v[34:35], v[54:55], v[36:37] neg_lo:[0,1] neg_hi:[0,1]
	v_pk_fma_f32 v[22:23], v[22:23], 0.5, v[30:31] op_sel_hi:[1,0,1] neg_lo:[1,0,0] neg_hi:[1,0,0]
	v_pk_mul_f32 v[34:35], v[34:35], s[0:1] op_sel_hi:[1,0]
	s_nop 0
	v_pk_add_f32 v[56:57], v[22:23], v[34:35] op_sel:[0,1] op_sel_hi:[1,0]
	v_pk_add_f32 v[22:23], v[22:23], v[34:35] op_sel:[0,1] op_sel_hi:[1,0] neg_lo:[0,1] neg_hi:[0,1]
	v_pk_mul_f32 v[34:35], v[76:77], v[10:11]
	s_nop 0
	v_pk_fma_f32 v[58:59], v[186:187], v[10:11], v[34:35] op_sel:[0,0,1] op_sel_hi:[1,1,0]
	v_pk_fma_f32 v[10:11], v[186:187], v[10:11], v[34:35] op_sel:[0,0,1] op_sel_hi:[1,1,0] neg_lo:[0,0,1] neg_hi:[0,0,1]
	s_nop 0
	v_mov_b32_e32 v59, v11
	v_pk_mul_f32 v[10:11], v[78:79], v[20:21]
	s_nop 0
	v_pk_fma_f32 v[34:35], v[188:189], v[20:21], v[10:11] op_sel:[0,0,1] op_sel_hi:[1,1,0]
	v_pk_fma_f32 v[10:11], v[188:189], v[20:21], v[10:11] op_sel:[0,0,1] op_sel_hi:[1,1,0] neg_lo:[0,0,1] neg_hi:[0,0,1]
	s_nop 0
	v_mov_b32_e32 v35, v11
	v_pk_add_f32 v[10:11], v[58:59], v[34:35]
	v_pk_add_f32 v[20:21], v[58:59], v[34:35] neg_lo:[0,1] neg_hi:[0,1]
	v_pk_fma_f32 v[10:11], v[10:11], 0.5, v[16:17] op_sel_hi:[1,0,1] neg_lo:[1,0,0] neg_hi:[1,0,0]
	v_pk_mul_f32 v[20:21], v[20:21], s[0:1] op_sel_hi:[1,0]
	s_nop 0
	v_pk_add_f32 v[60:61], v[10:11], v[20:21] op_sel:[0,1] op_sel_hi:[1,0]
	v_pk_add_f32 v[10:11], v[10:11], v[20:21] op_sel:[0,1] op_sel_hi:[1,0] neg_lo:[0,1] neg_hi:[0,1]
	v_mov_b32_e32 v21, v49
	v_mov_b32_e32 v49, v43
	;; [unrolled: 1-line block ×3, first 2 shown]
	ds_write2_b64 v5, v[48:49], v[50:51] offset0:82 offset1:181
	ds_write2_b64 v7, v[14:15], v[20:21] offset0:70 offset1:169
	v_mov_b32_e32 v14, v40
	v_mov_b32_e32 v15, v9
	ds_write2_b64 v4, v[18:19], v[14:15] offset0:140 offset1:239
	v_pk_add_f32 v[14:15], v[16:17], v[58:59]
	v_mov_b32_e32 v9, v41
	v_pk_add_f32 v[14:15], v[14:15], v[34:35]
	ds_write2_b64 v12, v[8:9], v[14:15] offset0:24 offset1:123
	v_mov_b32_e32 v8, v10
	v_mov_b32_e32 v9, v61
	;; [unrolled: 1-line block ×5, first 2 shown]
	v_pk_add_f32 v[10:11], v[30:31], v[54:55]
	ds_write2_b64 v6, v[8:9], v[14:15] offset0:36 offset1:135
	v_pk_add_f32 v[8:9], v[32:33], v[38:39]
	v_pk_add_f32 v[10:11], v[10:11], v[36:37]
	;; [unrolled: 1-line block ×3, first 2 shown]
	v_mov_b32_e32 v57, v23
	ds_write2_b64 v2, v[10:11], v[8:9] offset0:94 offset1:193
	v_mov_b32_e32 v8, v24
	v_mov_b32_e32 v9, v53
	;; [unrolled: 1-line block ×3, first 2 shown]
	ds_write2_b64 v3, v[8:9], v[60:61] offset0:106 offset1:205
	ds_write2_b64 v28, v[56:57], v[52:53] offset0:48 offset1:147
	s_waitcnt lgkmcnt(0)
	s_barrier
	ds_read2_b64 v[8:11], v12 offset0:24 offset1:123
	ds_read2_b64 v[14:17], v120 offset1:99
	ds_read2_b64 v[18:21], v2 offset0:94 offset1:193
	v_accvgpr_read_b32 v52, a14
	v_mad_u64_u32 v[26:27], s[0:1], s6, v52, 0
	s_waitcnt lgkmcnt(2)
	v_pk_mul_f32 v[22:23], v[164:165], v[10:11]
	v_mov_b32_e32 v30, v27
	v_pk_fma_f32 v[24:25], v[184:185], v[10:11], v[22:23] op_sel:[0,0,1] op_sel_hi:[1,1,0]
	v_pk_fma_f32 v[10:11], v[184:185], v[10:11], v[22:23] op_sel:[0,0,1] op_sel_hi:[1,1,0] neg_lo:[0,0,1] neg_hi:[0,0,1]
	s_movk_i32 s6, 0x3000
	v_mov_b32_e32 v25, v11
	s_waitcnt lgkmcnt(1)
	v_pk_add_f32 v[10:11], v[14:15], v[24:25] neg_lo:[0,1] neg_hi:[0,1]
	s_nop 0
	v_pk_fma_f32 v[32:33], v[14:15], 2.0, v[10:11] op_sel_hi:[1,0,1] neg_lo:[0,0,1] neg_hi:[0,0,1]
	s_waitcnt lgkmcnt(0)
	v_pk_mul_f32 v[14:15], v[162:163], v[18:19]
	s_nop 0
	v_pk_fma_f32 v[22:23], v[114:115], v[18:19], v[14:15] op_sel:[0,0,1] op_sel_hi:[1,1,0]
	v_pk_fma_f32 v[14:15], v[114:115], v[18:19], v[14:15] op_sel:[0,0,1] op_sel_hi:[1,1,0] neg_lo:[0,0,1] neg_hi:[0,0,1]
	v_pk_mul_f32 v[18:19], v[160:161], v[20:21]
	v_mov_b32_e32 v23, v15
	v_pk_add_f32 v[34:35], v[16:17], v[22:23] neg_lo:[0,1] neg_hi:[0,1]
	ds_read2_b64 v[22:25], v6 offset0:36 offset1:135
	v_pk_fma_f32 v[36:37], v[16:17], 2.0, v[34:35] op_sel_hi:[1,0,1] neg_lo:[0,0,1] neg_hi:[0,0,1]
	ds_read2_b64 v[14:17], v7 offset0:70 offset1:169
	v_pk_fma_f32 v[38:39], v[110:111], v[20:21], v[18:19] op_sel:[0,0,1] op_sel_hi:[1,1,0]
	v_pk_fma_f32 v[18:19], v[110:111], v[20:21], v[18:19] op_sel:[0,0,1] op_sel_hi:[1,1,0] neg_lo:[0,0,1] neg_hi:[0,0,1]
	s_nop 0
	v_mov_b32_e32 v39, v19
	s_waitcnt lgkmcnt(0)
	v_pk_add_f32 v[38:39], v[14:15], v[38:39] neg_lo:[0,1] neg_hi:[0,1]
	s_nop 0
	v_pk_fma_f32 v[40:41], v[14:15], 2.0, v[38:39] op_sel_hi:[1,0,1] neg_lo:[0,0,1] neg_hi:[0,0,1]
	v_pk_mul_f32 v[14:15], v[158:159], v[22:23]
	s_nop 0
	v_pk_fma_f32 v[18:19], v[112:113], v[22:23], v[14:15] op_sel:[0,0,1] op_sel_hi:[1,1,0]
	v_pk_fma_f32 v[14:15], v[112:113], v[22:23], v[14:15] op_sel:[0,0,1] op_sel_hi:[1,1,0] neg_lo:[0,0,1] neg_hi:[0,0,1]
	v_pk_mul_f32 v[22:23], v[156:157], v[24:25]
	v_mov_b32_e32 v19, v15
	v_pk_add_f32 v[42:43], v[16:17], v[18:19] neg_lo:[0,1] neg_hi:[0,1]
	ds_read2_b64 v[18:21], v3 offset0:106 offset1:205
	v_pk_fma_f32 v[44:45], v[16:17], 2.0, v[42:43] op_sel_hi:[1,0,1] neg_lo:[0,0,1] neg_hi:[0,0,1]
	ds_read2_b64 v[14:17], v4 offset0:140 offset1:239
	v_pk_fma_f32 v[46:47], v[108:109], v[24:25], v[22:23] op_sel:[0,0,1] op_sel_hi:[1,1,0]
	v_pk_fma_f32 v[22:23], v[108:109], v[24:25], v[22:23] op_sel:[0,0,1] op_sel_hi:[1,1,0] neg_lo:[0,0,1] neg_hi:[0,0,1]
	v_accvgpr_read_b32 v24, a70
	v_mov_b32_e32 v47, v23
	s_waitcnt lgkmcnt(0)
	v_pk_add_f32 v[46:47], v[14:15], v[46:47] neg_lo:[0,1] neg_hi:[0,1]
	v_accvgpr_read_b32 v25, a71
	v_pk_fma_f32 v[48:49], v[14:15], 2.0, v[46:47] op_sel_hi:[1,0,1] neg_lo:[0,0,1] neg_hi:[0,0,1]
	v_pk_mul_f32 v[14:15], v[154:155], v[18:19]
	s_nop 0
	v_pk_fma_f32 v[22:23], v[24:25], v[18:19], v[14:15] op_sel:[0,0,1] op_sel_hi:[1,1,0]
	v_pk_fma_f32 v[14:15], v[24:25], v[18:19], v[14:15] op_sel:[0,0,1] op_sel_hi:[1,1,0] neg_lo:[0,0,1] neg_hi:[0,0,1]
	s_nop 0
	v_mov_b32_e32 v23, v15
	v_pk_add_f32 v[18:19], v[16:17], v[22:23] neg_lo:[0,1] neg_hi:[0,1]
	ds_read2_b64 v[22:25], v28 offset0:48 offset1:147
	ds_write2_b64 v120, v[32:33], v[36:37] offset1:99
	ds_write2_b64 v7, v[40:41], v[44:45] offset0:70 offset1:169
	v_pk_fma_f32 v[50:51], v[16:17], 2.0, v[18:19] op_sel_hi:[1,0,1] neg_lo:[0,0,1] neg_hi:[0,0,1]
	ds_read2_b64 v[14:17], v5 offset0:82 offset1:181
	v_accvgpr_read_b32 v40, a66
	s_waitcnt lgkmcnt(3)
	v_pk_mul_f32 v[32:33], v[144:145], v[22:23]
	v_accvgpr_read_b32 v41, a67
	v_pk_fma_f32 v[36:37], v[166:167], v[22:23], v[32:33] op_sel:[0,0,1] op_sel_hi:[1,1,0]
	v_pk_fma_f32 v[22:23], v[166:167], v[22:23], v[32:33] op_sel:[0,0,1] op_sel_hi:[1,1,0] neg_lo:[0,0,1] neg_hi:[0,0,1]
	v_pk_mul_f32 v[32:33], v[136:137], v[24:25]
	v_mov_b32_e32 v37, v23
	s_waitcnt lgkmcnt(0)
	v_pk_add_f32 v[22:23], v[16:17], v[36:37] neg_lo:[0,1] neg_hi:[0,1]
	v_pk_fma_f32 v[36:37], v[40:41], v[24:25], v[32:33] op_sel:[0,0,1] op_sel_hi:[1,1,0]
	v_pk_fma_f32 v[24:25], v[40:41], v[24:25], v[32:33] op_sel:[0,0,1] op_sel_hi:[1,1,0] neg_lo:[0,0,1] neg_hi:[0,0,1]
	ds_write2_b64 v2, v[34:35], v[38:39] offset0:94 offset1:193
	v_mov_b32_e32 v37, v25
	v_pk_add_f32 v[24:25], v[8:9], v[36:37] neg_lo:[0,1] neg_hi:[0,1]
	v_accvgpr_read_b32 v36, a46
	v_accvgpr_read_b32 v37, a47
	v_pk_mul_f32 v[32:33], v[36:37], v[20:21] op_sel:[1,0]
	v_pk_fma_f32 v[8:9], v[8:9], 2.0, v[24:25] op_sel_hi:[1,0,1] neg_lo:[0,0,1] neg_hi:[0,0,1]
	v_pk_fma_f32 v[34:35], v[36:37], v[20:21], v[32:33] op_sel:[0,0,1] op_sel_hi:[1,1,0]
	v_pk_fma_f32 v[20:21], v[36:37], v[20:21], v[32:33] op_sel:[0,0,1] op_sel_hi:[0,1,0] neg_lo:[0,0,1] neg_hi:[0,0,1]
	v_mov_b32_e32 v35, v21
	v_pk_add_f32 v[20:21], v[14:15], v[34:35] neg_lo:[0,1] neg_hi:[0,1]
	ds_write2_b64 v6, v[42:43], v[46:47] offset0:36 offset1:135
	ds_write2_b64 v4, v[48:49], v[50:51] offset0:140 offset1:239
	v_pk_fma_f32 v[6:7], v[14:15], 2.0, v[20:21] op_sel_hi:[1,0,1] neg_lo:[0,0,1] neg_hi:[0,0,1]
	v_pk_fma_f32 v[16:17], v[16:17], 2.0, v[22:23] op_sel_hi:[1,0,1] neg_lo:[0,0,1] neg_hi:[0,0,1]
	ds_write2_b64 v3, v[18:19], v[20:21] offset0:106 offset1:205
	ds_write2_b64 v5, v[6:7], v[16:17] offset0:82 offset1:181
	;; [unrolled: 1-line block ×4, first 2 shown]
	s_waitcnt lgkmcnt(0)
	s_barrier
	ds_read2_b64 v[6:9], v120 offset1:162
	v_accvgpr_read_b32 v12, a24
	v_accvgpr_read_b32 v13, a25
	v_mad_u64_u32 v[10:11], s[0:1], s7, v52, v[30:31]
	s_waitcnt lgkmcnt(0)
	v_mul_f32_e32 v5, v13, v7
	v_fmac_f32_e32 v5, v12, v6
	v_mov_b32_e32 v27, v10
	v_cvt_f64_f32_e32 v[10:11], v5
	v_mul_f32_e32 v5, v13, v6
	s_mov_b32 s0, 0x7210aa18
	v_fma_f32 v5, v12, v7, -v5
	s_mov_b32 s1, 0x3f426369
	v_cvt_f64_f32_e32 v[6:7], v5
	v_mul_f64 v[10:11], v[10:11], s[0:1]
	v_mul_f64 v[6:7], v[6:7], s[0:1]
	v_cvt_f32_f64_e32 v10, v[10:11]
	v_cvt_f32_f64_e32 v11, v[6:7]
	v_mad_u64_u32 v[6:7], s[2:3], s4, v172, 0
	v_mov_b32_e32 v12, v7
	v_mad_u64_u32 v[12:13], s[2:3], s5, v172, v[12:13]
	v_mov_b32_e32 v7, v12
	v_accvgpr_read_b32 v12, a26
	v_accvgpr_read_b32 v13, a27
	v_mul_f32_e32 v5, v13, v9
	v_lshl_add_u64 v[0:1], v[26:27], 3, v[0:1]
	v_fmac_f32_e32 v5, v12, v8
	v_lshl_add_u64 v[0:1], v[6:7], 3, v[0:1]
	v_cvt_f64_f32_e32 v[6:7], v5
	v_mul_f32_e32 v5, v13, v8
	v_mul_f64 v[6:7], v[6:7], s[0:1]
	v_fma_f32 v5, v12, v9, -v5
	global_store_dwordx2 v[0:1], v[10:11], off
	v_cvt_f32_f64_e32 v10, v[6:7]
	v_cvt_f64_f32_e32 v[6:7], v5
	v_mul_f64 v[6:7], v[6:7], s[0:1]
	s_mul_i32 s2, s5, 0xa2
	s_mul_hi_u32 s3, s4, 0xa2
	v_cvt_f32_f64_e32 v11, v[6:7]
	s_add_i32 s3, s3, s2
	ds_read2_b64 v[4:7], v4 offset0:68 offset1:230
	s_mul_i32 s2, s4, 0xa2
	s_lshl_b64 s[2:3], s[2:3], 3
	v_lshl_add_u64 v[0:1], v[0:1], 0, s[2:3]
	global_store_dwordx2 v[0:1], v[10:11], off
	v_accvgpr_read_b32 v10, a22
	v_accvgpr_read_b32 v11, a23
	s_waitcnt lgkmcnt(0)
	v_mul_f32_e32 v8, v11, v5
	v_fmac_f32_e32 v8, v10, v4
	v_mul_f32_e32 v4, v11, v4
	v_fma_f32 v4, v10, v5, -v4
	v_cvt_f64_f32_e32 v[8:9], v8
	v_cvt_f64_f32_e32 v[4:5], v4
	v_accvgpr_read_b32 v10, a18
	v_mul_f64 v[8:9], v[8:9], s[0:1]
	v_mul_f64 v[4:5], v[4:5], s[0:1]
	v_accvgpr_read_b32 v11, a19
	v_cvt_f32_f64_e32 v8, v[8:9]
	v_cvt_f32_f64_e32 v9, v[4:5]
	v_mul_f32_e32 v4, v11, v7
	v_fmac_f32_e32 v4, v10, v6
	v_cvt_f64_f32_e32 v[4:5], v4
	v_lshl_add_u64 v[0:1], v[0:1], 0, s[2:3]
	v_mul_f64 v[4:5], v[4:5], s[0:1]
	global_store_dwordx2 v[0:1], v[8:9], off
	v_cvt_f32_f64_e32 v8, v[4:5]
	v_mul_f32_e32 v4, v11, v6
	v_fma_f32 v4, v10, v7, -v4
	v_cvt_f64_f32_e32 v[10:11], v4
	v_add_u32_e32 v4, 0x1400, v120
	ds_read2_b64 v[4:7], v4 offset0:8 offset1:170
	v_mul_f64 v[10:11], v[10:11], s[0:1]
	v_cvt_f32_f64_e32 v9, v[10:11]
	v_accvgpr_read_b32 v10, a16
	v_lshl_add_u64 v[0:1], v[0:1], 0, s[2:3]
	v_accvgpr_read_b32 v11, a17
	global_store_dwordx2 v[0:1], v[8:9], off
	s_waitcnt lgkmcnt(0)
	v_mul_f32_e32 v8, v11, v5
	v_fmac_f32_e32 v8, v10, v4
	v_mul_f32_e32 v4, v11, v4
	v_fma_f32 v4, v10, v5, -v4
	v_cvt_f64_f32_e32 v[8:9], v8
	v_cvt_f64_f32_e32 v[4:5], v4
	v_accvgpr_read_b32 v10, a20
	v_mul_f64 v[8:9], v[8:9], s[0:1]
	v_mul_f64 v[4:5], v[4:5], s[0:1]
	v_accvgpr_read_b32 v11, a21
	v_cvt_f32_f64_e32 v8, v[8:9]
	v_cvt_f32_f64_e32 v9, v[4:5]
	v_mul_f32_e32 v4, v11, v7
	v_fmac_f32_e32 v4, v10, v6
	v_cvt_f64_f32_e32 v[4:5], v4
	v_lshl_add_u64 v[0:1], v[0:1], 0, s[2:3]
	v_mul_f64 v[4:5], v[4:5], s[0:1]
	global_store_dwordx2 v[0:1], v[8:9], off
	v_cvt_f32_f64_e32 v8, v[4:5]
	v_mul_f32_e32 v4, v11, v6
	v_fma_f32 v4, v10, v7, -v4
	v_cvt_f64_f32_e32 v[10:11], v4
	ds_read2_b64 v[4:7], v2 offset0:76 offset1:238
	v_mul_f64 v[10:11], v[10:11], s[0:1]
	v_cvt_f32_f64_e32 v9, v[10:11]
	v_accvgpr_read_b32 v11, a9
	v_accvgpr_read_b32 v10, a8
	s_waitcnt lgkmcnt(0)
	v_mul_f32_e32 v2, v11, v5
	v_lshl_add_u64 v[0:1], v[0:1], 0, s[2:3]
	v_fmac_f32_e32 v2, v10, v4
	global_store_dwordx2 v[0:1], v[8:9], off
	v_cvt_f64_f32_e32 v[8:9], v2
	v_mul_f32_e32 v2, v11, v4
	v_fma_f32 v2, v10, v5, -v2
	v_cvt_f64_f32_e32 v[4:5], v2
	v_accvgpr_read_b32 v10, a10
	v_mul_f64 v[8:9], v[8:9], s[0:1]
	v_mul_f64 v[4:5], v[4:5], s[0:1]
	v_accvgpr_read_b32 v11, a11
	v_cvt_f32_f64_e32 v8, v[8:9]
	v_cvt_f32_f64_e32 v9, v[4:5]
	v_lshl_add_u64 v[4:5], v[0:1], 0, s[2:3]
	v_mul_f32_e32 v0, v11, v7
	v_fmac_f32_e32 v0, v10, v6
	v_cvt_f64_f32_e32 v[0:1], v0
	v_mul_f64 v[0:1], v[0:1], s[0:1]
	global_store_dwordx2 v[4:5], v[8:9], off
	v_cvt_f32_f64_e32 v8, v[0:1]
	v_mul_f32_e32 v0, v11, v6
	v_fma_f32 v0, v10, v7, -v0
	v_cvt_f64_f32_e32 v[6:7], v0
	ds_read2_b64 v[0:3], v3 offset0:16 offset1:178
	v_mul_f64 v[6:7], v[6:7], s[0:1]
	v_cvt_f32_f64_e32 v9, v[6:7]
	v_lshl_add_u64 v[4:5], v[4:5], 0, s[2:3]
	global_store_dwordx2 v[4:5], v[8:9], off
	v_accvgpr_read_b32 v8, a12
	v_accvgpr_read_b32 v9, a13
	s_waitcnt lgkmcnt(0)
	v_mul_f32_e32 v6, v9, v1
	v_fmac_f32_e32 v6, v8, v0
	v_mul_f32_e32 v0, v9, v0
	v_fma_f32 v0, v8, v1, -v0
	v_cvt_f64_f32_e32 v[6:7], v6
	v_cvt_f64_f32_e32 v[0:1], v0
	v_mul_f64 v[6:7], v[6:7], s[0:1]
	v_mul_f64 v[0:1], v[0:1], s[0:1]
	v_cvt_f32_f64_e32 v6, v[6:7]
	v_cvt_f32_f64_e32 v7, v[0:1]
	v_lshl_add_u64 v[0:1], v[4:5], 0, s[2:3]
	global_store_dwordx2 v[0:1], v[6:7], off
	v_accvgpr_read_b32 v7, a5
	v_accvgpr_read_b32 v6, a4
	v_mul_f32_e32 v4, v7, v3
	v_fmac_f32_e32 v4, v6, v2
	v_mul_f32_e32 v2, v7, v2
	v_fma_f32 v2, v6, v3, -v2
	ds_read_b64 v[6:7], v120 offset:12960
	v_cvt_f64_f32_e32 v[4:5], v4
	v_cvt_f64_f32_e32 v[2:3], v2
	v_mul_f64 v[4:5], v[4:5], s[0:1]
	v_mul_f64 v[2:3], v[2:3], s[0:1]
	v_cvt_f32_f64_e32 v4, v[4:5]
	v_cvt_f32_f64_e32 v5, v[2:3]
	v_lshl_add_u64 v[0:1], v[0:1], 0, s[2:3]
	global_store_dwordx2 v[0:1], v[4:5], off
	v_accvgpr_read_b32 v5, a3
	v_accvgpr_read_b32 v4, a2
	s_waitcnt lgkmcnt(0)
	v_mul_f32_e32 v2, v5, v7
	v_fmac_f32_e32 v2, v4, v6
	v_cvt_f64_f32_e32 v[2:3], v2
	v_mul_f64 v[2:3], v[2:3], s[0:1]
	v_cvt_f32_f64_e32 v2, v[2:3]
	v_mul_f32_e32 v3, v5, v6
	v_fma_f32 v3, v4, v7, -v3
	v_cvt_f64_f32_e32 v[4:5], v3
	v_mul_f64 v[4:5], v[4:5], s[0:1]
	s_movk_i32 s7, 0x1000
	v_cvt_f32_f64_e32 v3, v[4:5]
	v_lshl_add_u64 v[0:1], v[0:1], 0, s[2:3]
	global_store_dwordx2 v[0:1], v[2:3], off
	s_and_b64 exec, exec, vcc
	s_cbranch_execz .LBB0_15
; %bb.14:
	v_accvgpr_read_b32 v13, a1
	v_accvgpr_read_b32 v12, a0
	global_load_dwordx2 v[6:7], v[12:13], off offset:792
	v_add_u32_e32 v2, 0x200, v120
	ds_read2_b64 v[2:5], v2 offset0:35 offset1:197
	v_mov_b32_e32 v8, 0xffffd078
	v_mad_u64_u32 v[0:1], s[8:9], s4, v8, v[0:1]
	s_mulk_i32 s5, 0xd078
	s_sub_i32 s4, s5, s4
	v_add_u32_e32 v1, s4, v1
	s_movk_i32 s4, 0x2000
	s_waitcnt vmcnt(0) lgkmcnt(0)
	v_mul_f32_e32 v8, v3, v7
	v_mul_f32_e32 v7, v2, v7
	v_fmac_f32_e32 v8, v2, v6
	v_fma_f32 v6, v6, v3, -v7
	v_cvt_f64_f32_e32 v[2:3], v8
	v_cvt_f64_f32_e32 v[6:7], v6
	v_mul_f64 v[2:3], v[2:3], s[0:1]
	v_mul_f64 v[6:7], v[6:7], s[0:1]
	v_cvt_f32_f64_e32 v2, v[2:3]
	v_cvt_f32_f64_e32 v3, v[6:7]
	global_store_dwordx2 v[0:1], v[2:3], off
	global_load_dwordx2 v[2:3], v[12:13], off offset:2088
	v_lshl_add_u64 v[6:7], v[0:1], 0, s[2:3]
	v_add_co_u32_e32 v8, vcc, s7, v12
	s_waitcnt vmcnt(0)
	v_mul_f32_e32 v0, v5, v3
	v_mul_f32_e32 v1, v4, v3
	v_fmac_f32_e32 v0, v4, v2
	v_fma_f32 v2, v2, v5, -v1
	v_cvt_f64_f32_e32 v[0:1], v0
	v_cvt_f64_f32_e32 v[2:3], v2
	v_mul_f64 v[0:1], v[0:1], s[0:1]
	v_mul_f64 v[2:3], v[2:3], s[0:1]
	v_cvt_f32_f64_e32 v0, v[0:1]
	v_cvt_f32_f64_e32 v1, v[2:3]
	global_store_dwordx2 v[6:7], v[0:1], off
	global_load_dwordx2 v[4:5], v[12:13], off offset:3384
	v_add_u32_e32 v0, 0xc00, v120
	ds_read2_b64 v[0:3], v0 offset0:39 offset1:201
	v_lshl_add_u64 v[6:7], v[6:7], 0, s[2:3]
	v_addc_co_u32_e32 v9, vcc, 0, v13, vcc
	s_waitcnt vmcnt(0) lgkmcnt(0)
	v_mul_f32_e32 v10, v1, v5
	v_mul_f32_e32 v5, v0, v5
	v_fmac_f32_e32 v10, v0, v4
	v_fma_f32 v4, v4, v1, -v5
	v_cvt_f64_f32_e32 v[0:1], v10
	v_cvt_f64_f32_e32 v[4:5], v4
	v_mul_f64 v[0:1], v[0:1], s[0:1]
	v_mul_f64 v[4:5], v[4:5], s[0:1]
	v_cvt_f32_f64_e32 v0, v[0:1]
	v_cvt_f32_f64_e32 v1, v[4:5]
	global_store_dwordx2 v[6:7], v[0:1], off
	global_load_dwordx2 v[0:1], v[8:9], off offset:584
	v_lshl_add_u64 v[4:5], v[6:7], 0, s[2:3]
	s_waitcnt vmcnt(0)
	v_mul_f32_e32 v6, v3, v1
	v_mul_f32_e32 v1, v2, v1
	v_fmac_f32_e32 v6, v2, v0
	v_fma_f32 v2, v0, v3, -v1
	v_cvt_f64_f32_e32 v[0:1], v6
	v_cvt_f64_f32_e32 v[2:3], v2
	v_mul_f64 v[0:1], v[0:1], s[0:1]
	v_mul_f64 v[2:3], v[2:3], s[0:1]
	v_cvt_f32_f64_e32 v0, v[0:1]
	v_cvt_f32_f64_e32 v1, v[2:3]
	global_store_dwordx2 v[4:5], v[0:1], off
	global_load_dwordx2 v[6:7], v[8:9], off offset:1880
	v_add_u32_e32 v0, 0x1600, v120
	ds_read2_b64 v[0:3], v0 offset0:43 offset1:205
	v_lshl_add_u64 v[4:5], v[4:5], 0, s[2:3]
	s_waitcnt vmcnt(0) lgkmcnt(0)
	v_mul_f32_e32 v10, v1, v7
	v_mul_f32_e32 v7, v0, v7
	v_fmac_f32_e32 v10, v0, v6
	v_fma_f32 v6, v6, v1, -v7
	v_cvt_f64_f32_e32 v[0:1], v10
	v_cvt_f64_f32_e32 v[6:7], v6
	v_mul_f64 v[0:1], v[0:1], s[0:1]
	v_mul_f64 v[6:7], v[6:7], s[0:1]
	v_cvt_f32_f64_e32 v0, v[0:1]
	v_cvt_f32_f64_e32 v1, v[6:7]
	global_store_dwordx2 v[4:5], v[0:1], off
	global_load_dwordx2 v[0:1], v[8:9], off offset:3176
	v_add_co_u32_e32 v6, vcc, s4, v12
	v_lshl_add_u64 v[4:5], v[4:5], 0, s[2:3]
	s_nop 0
	v_addc_co_u32_e32 v7, vcc, 0, v13, vcc
	s_waitcnt vmcnt(0)
	v_mul_f32_e32 v8, v3, v1
	v_mul_f32_e32 v1, v2, v1
	v_fmac_f32_e32 v8, v2, v0
	v_fma_f32 v2, v0, v3, -v1
	v_cvt_f64_f32_e32 v[0:1], v8
	v_cvt_f64_f32_e32 v[2:3], v2
	v_mul_f64 v[0:1], v[0:1], s[0:1]
	v_mul_f64 v[2:3], v[2:3], s[0:1]
	v_cvt_f32_f64_e32 v0, v[0:1]
	v_cvt_f32_f64_e32 v1, v[2:3]
	global_store_dwordx2 v[4:5], v[0:1], off
	global_load_dwordx2 v[8:9], v[6:7], off offset:376
	v_add_u32_e32 v0, 0x2000, v120
	ds_read2_b64 v[0:3], v0 offset0:47 offset1:209
	v_lshl_add_u64 v[4:5], v[4:5], 0, s[2:3]
	s_waitcnt vmcnt(0) lgkmcnt(0)
	v_mul_f32_e32 v10, v1, v9
	v_mul_f32_e32 v9, v0, v9
	v_fmac_f32_e32 v10, v0, v8
	v_fma_f32 v8, v8, v1, -v9
	v_cvt_f64_f32_e32 v[0:1], v10
	v_cvt_f64_f32_e32 v[8:9], v8
	v_mul_f64 v[0:1], v[0:1], s[0:1]
	v_mul_f64 v[8:9], v[8:9], s[0:1]
	v_cvt_f32_f64_e32 v0, v[0:1]
	v_cvt_f32_f64_e32 v1, v[8:9]
	global_store_dwordx2 v[4:5], v[0:1], off
	global_load_dwordx2 v[0:1], v[6:7], off offset:1672
	v_lshl_add_u64 v[4:5], v[4:5], 0, s[2:3]
	s_waitcnt vmcnt(0)
	v_mul_f32_e32 v8, v3, v1
	v_mul_f32_e32 v1, v2, v1
	v_fmac_f32_e32 v8, v2, v0
	v_fma_f32 v2, v0, v3, -v1
	v_cvt_f64_f32_e32 v[0:1], v8
	v_cvt_f64_f32_e32 v[2:3], v2
	v_mul_f64 v[0:1], v[0:1], s[0:1]
	v_mul_f64 v[2:3], v[2:3], s[0:1]
	v_cvt_f32_f64_e32 v0, v[0:1]
	v_cvt_f32_f64_e32 v1, v[2:3]
	global_store_dwordx2 v[4:5], v[0:1], off
	global_load_dwordx2 v[6:7], v[6:7], off offset:2968
	v_add_u32_e32 v0, 0x2a00, v120
	ds_read2_b64 v[0:3], v0 offset0:51 offset1:213
	v_add_co_u32_e32 v8, vcc, s6, v12
	v_lshl_add_u64 v[4:5], v[4:5], 0, s[2:3]
	s_nop 0
	v_addc_co_u32_e32 v9, vcc, 0, v13, vcc
	s_waitcnt vmcnt(0) lgkmcnt(0)
	v_mul_f32_e32 v10, v1, v7
	v_mul_f32_e32 v7, v0, v7
	v_fmac_f32_e32 v10, v0, v6
	v_fma_f32 v6, v6, v1, -v7
	v_cvt_f64_f32_e32 v[0:1], v10
	v_cvt_f64_f32_e32 v[6:7], v6
	v_mul_f64 v[0:1], v[0:1], s[0:1]
	v_mul_f64 v[6:7], v[6:7], s[0:1]
	v_cvt_f32_f64_e32 v0, v[0:1]
	v_cvt_f32_f64_e32 v1, v[6:7]
	global_store_dwordx2 v[4:5], v[0:1], off
	global_load_dwordx2 v[0:1], v[8:9], off offset:168
	v_lshl_add_u64 v[4:5], v[4:5], 0, s[2:3]
	s_waitcnt vmcnt(0)
	v_mul_f32_e32 v6, v3, v1
	v_mul_f32_e32 v1, v2, v1
	v_fmac_f32_e32 v6, v2, v0
	v_fma_f32 v2, v0, v3, -v1
	v_cvt_f64_f32_e32 v[0:1], v6
	v_cvt_f64_f32_e32 v[2:3], v2
	v_mul_f64 v[0:1], v[0:1], s[0:1]
	v_mul_f64 v[2:3], v[2:3], s[0:1]
	v_cvt_f32_f64_e32 v0, v[0:1]
	v_cvt_f32_f64_e32 v1, v[2:3]
	global_store_dwordx2 v[4:5], v[0:1], off
	global_load_dwordx2 v[0:1], v[8:9], off offset:1464
	ds_read_b64 v[2:3], v120 offset:13752
	s_waitcnt vmcnt(0) lgkmcnt(0)
	v_mul_f32_e32 v6, v3, v1
	v_mul_f32_e32 v1, v2, v1
	v_fmac_f32_e32 v6, v2, v0
	v_fma_f32 v2, v0, v3, -v1
	v_cvt_f64_f32_e32 v[0:1], v6
	v_cvt_f64_f32_e32 v[2:3], v2
	v_mul_f64 v[0:1], v[0:1], s[0:1]
	v_mul_f64 v[2:3], v[2:3], s[0:1]
	v_cvt_f32_f64_e32 v0, v[0:1]
	v_cvt_f32_f64_e32 v1, v[2:3]
	v_lshl_add_u64 v[2:3], v[4:5], 0, s[2:3]
	global_store_dwordx2 v[2:3], v[0:1], off
.LBB0_15:
	s_endpgm
	.section	.rodata,"a",@progbits
	.p2align	6, 0x0
	.amdhsa_kernel bluestein_single_back_len1782_dim1_sp_op_CI_CI
		.amdhsa_group_segment_fixed_size 14256
		.amdhsa_private_segment_fixed_size 0
		.amdhsa_kernarg_size 104
		.amdhsa_user_sgpr_count 2
		.amdhsa_user_sgpr_dispatch_ptr 0
		.amdhsa_user_sgpr_queue_ptr 0
		.amdhsa_user_sgpr_kernarg_segment_ptr 1
		.amdhsa_user_sgpr_dispatch_id 0
		.amdhsa_user_sgpr_kernarg_preload_length 0
		.amdhsa_user_sgpr_kernarg_preload_offset 0
		.amdhsa_user_sgpr_private_segment_size 0
		.amdhsa_uses_dynamic_stack 0
		.amdhsa_enable_private_segment 0
		.amdhsa_system_sgpr_workgroup_id_x 1
		.amdhsa_system_sgpr_workgroup_id_y 0
		.amdhsa_system_sgpr_workgroup_id_z 0
		.amdhsa_system_sgpr_workgroup_info 0
		.amdhsa_system_vgpr_workitem_id 0
		.amdhsa_next_free_vgpr 336
		.amdhsa_next_free_sgpr 46
		.amdhsa_accum_offset 256
		.amdhsa_reserve_vcc 1
		.amdhsa_float_round_mode_32 0
		.amdhsa_float_round_mode_16_64 0
		.amdhsa_float_denorm_mode_32 3
		.amdhsa_float_denorm_mode_16_64 3
		.amdhsa_dx10_clamp 1
		.amdhsa_ieee_mode 1
		.amdhsa_fp16_overflow 0
		.amdhsa_tg_split 0
		.amdhsa_exception_fp_ieee_invalid_op 0
		.amdhsa_exception_fp_denorm_src 0
		.amdhsa_exception_fp_ieee_div_zero 0
		.amdhsa_exception_fp_ieee_overflow 0
		.amdhsa_exception_fp_ieee_underflow 0
		.amdhsa_exception_fp_ieee_inexact 0
		.amdhsa_exception_int_div_zero 0
	.end_amdhsa_kernel
	.text
.Lfunc_end0:
	.size	bluestein_single_back_len1782_dim1_sp_op_CI_CI, .Lfunc_end0-bluestein_single_back_len1782_dim1_sp_op_CI_CI
                                        ; -- End function
	.section	.AMDGPU.csdata,"",@progbits
; Kernel info:
; codeLenInByte = 25040
; NumSgprs: 52
; NumVgprs: 256
; NumAgprs: 80
; TotalNumVgprs: 336
; ScratchSize: 0
; MemoryBound: 0
; FloatMode: 240
; IeeeMode: 1
; LDSByteSize: 14256 bytes/workgroup (compile time only)
; SGPRBlocks: 6
; VGPRBlocks: 41
; NumSGPRsForWavesPerEU: 52
; NumVGPRsForWavesPerEU: 336
; AccumOffset: 256
; Occupancy: 1
; WaveLimiterHint : 1
; COMPUTE_PGM_RSRC2:SCRATCH_EN: 0
; COMPUTE_PGM_RSRC2:USER_SGPR: 2
; COMPUTE_PGM_RSRC2:TRAP_HANDLER: 0
; COMPUTE_PGM_RSRC2:TGID_X_EN: 1
; COMPUTE_PGM_RSRC2:TGID_Y_EN: 0
; COMPUTE_PGM_RSRC2:TGID_Z_EN: 0
; COMPUTE_PGM_RSRC2:TIDIG_COMP_CNT: 0
; COMPUTE_PGM_RSRC3_GFX90A:ACCUM_OFFSET: 63
; COMPUTE_PGM_RSRC3_GFX90A:TG_SPLIT: 0
	.text
	.p2alignl 6, 3212836864
	.fill 256, 4, 3212836864
	.type	__hip_cuid_5318d5cc470d883c,@object ; @__hip_cuid_5318d5cc470d883c
	.section	.bss,"aw",@nobits
	.globl	__hip_cuid_5318d5cc470d883c
__hip_cuid_5318d5cc470d883c:
	.byte	0                               ; 0x0
	.size	__hip_cuid_5318d5cc470d883c, 1

	.ident	"AMD clang version 19.0.0git (https://github.com/RadeonOpenCompute/llvm-project roc-6.4.0 25133 c7fe45cf4b819c5991fe208aaa96edf142730f1d)"
	.section	".note.GNU-stack","",@progbits
	.addrsig
	.addrsig_sym __hip_cuid_5318d5cc470d883c
	.amdgpu_metadata
---
amdhsa.kernels:
  - .agpr_count:     80
    .args:
      - .actual_access:  read_only
        .address_space:  global
        .offset:         0
        .size:           8
        .value_kind:     global_buffer
      - .actual_access:  read_only
        .address_space:  global
        .offset:         8
        .size:           8
        .value_kind:     global_buffer
      - .actual_access:  read_only
        .address_space:  global
        .offset:         16
        .size:           8
        .value_kind:     global_buffer
      - .actual_access:  read_only
        .address_space:  global
        .offset:         24
        .size:           8
        .value_kind:     global_buffer
      - .actual_access:  read_only
        .address_space:  global
        .offset:         32
        .size:           8
        .value_kind:     global_buffer
      - .offset:         40
        .size:           8
        .value_kind:     by_value
      - .address_space:  global
        .offset:         48
        .size:           8
        .value_kind:     global_buffer
      - .address_space:  global
        .offset:         56
        .size:           8
        .value_kind:     global_buffer
      - .address_space:  global
        .offset:         64
        .size:           8
        .value_kind:     global_buffer
      - .address_space:  global
        .offset:         72
        .size:           8
        .value_kind:     global_buffer
      - .offset:         80
        .size:           4
        .value_kind:     by_value
      - .address_space:  global
        .offset:         88
        .size:           8
        .value_kind:     global_buffer
      - .address_space:  global
        .offset:         96
        .size:           8
        .value_kind:     global_buffer
    .group_segment_fixed_size: 14256
    .kernarg_segment_align: 8
    .kernarg_segment_size: 104
    .language:       OpenCL C
    .language_version:
      - 2
      - 0
    .max_flat_workgroup_size: 99
    .name:           bluestein_single_back_len1782_dim1_sp_op_CI_CI
    .private_segment_fixed_size: 0
    .sgpr_count:     52
    .sgpr_spill_count: 0
    .symbol:         bluestein_single_back_len1782_dim1_sp_op_CI_CI.kd
    .uniform_work_group_size: 1
    .uses_dynamic_stack: false
    .vgpr_count:     336
    .vgpr_spill_count: 0
    .wavefront_size: 64
amdhsa.target:   amdgcn-amd-amdhsa--gfx950
amdhsa.version:
  - 1
  - 2
...

	.end_amdgpu_metadata
